;; amdgpu-corpus repo=ROCm/rocFFT kind=compiled arch=gfx1100 opt=O3
	.text
	.amdgcn_target "amdgcn-amd-amdhsa--gfx1100"
	.amdhsa_code_object_version 6
	.protected	fft_rtc_back_len1755_factors_13_3_3_3_5_wgs_117_tpt_117_halfLds_dp_ip_CI_unitstride_sbrr_dirReg ; -- Begin function fft_rtc_back_len1755_factors_13_3_3_3_5_wgs_117_tpt_117_halfLds_dp_ip_CI_unitstride_sbrr_dirReg
	.globl	fft_rtc_back_len1755_factors_13_3_3_3_5_wgs_117_tpt_117_halfLds_dp_ip_CI_unitstride_sbrr_dirReg
	.p2align	8
	.type	fft_rtc_back_len1755_factors_13_3_3_3_5_wgs_117_tpt_117_halfLds_dp_ip_CI_unitstride_sbrr_dirReg,@function
fft_rtc_back_len1755_factors_13_3_3_3_5_wgs_117_tpt_117_halfLds_dp_ip_CI_unitstride_sbrr_dirReg: ; @fft_rtc_back_len1755_factors_13_3_3_3_5_wgs_117_tpt_117_halfLds_dp_ip_CI_unitstride_sbrr_dirReg
; %bb.0:
	s_clause 0x2
	s_load_b128 s[4:7], s[0:1], 0x0
	s_load_b64 s[8:9], s[0:1], 0x50
	s_load_b64 s[10:11], s[0:1], 0x18
	v_mul_u32_u24_e32 v1, 0x231, v0
	v_mov_b32_e32 v3, 0
	v_mov_b32_e32 v4, 0
	s_delay_alu instid0(VALU_DEP_3) | instskip(SKIP_1) | instid1(VALU_DEP_1)
	v_lshrrev_b32_e32 v2, 16, v1
	v_mov_b32_e32 v1, 0
	v_dual_mov_b32 v6, v1 :: v_dual_add_nc_u32 v5, s15, v2
	s_waitcnt lgkmcnt(0)
	v_cmp_lt_u64_e64 s2, s[6:7], 2
	s_delay_alu instid0(VALU_DEP_1)
	s_and_b32 vcc_lo, exec_lo, s2
	s_cbranch_vccnz .LBB0_8
; %bb.1:
	s_load_b64 s[2:3], s[0:1], 0x10
	v_mov_b32_e32 v3, 0
	s_add_u32 s12, s10, 8
	v_mov_b32_e32 v4, 0
	s_addc_u32 s13, s11, 0
	s_mov_b64 s[16:17], 1
	s_waitcnt lgkmcnt(0)
	s_add_u32 s14, s2, 8
	s_addc_u32 s15, s3, 0
.LBB0_2:                                ; =>This Inner Loop Header: Depth=1
	s_load_b64 s[18:19], s[14:15], 0x0
                                        ; implicit-def: $vgpr7_vgpr8
	s_mov_b32 s2, exec_lo
	s_waitcnt lgkmcnt(0)
	v_or_b32_e32 v2, s19, v6
	s_delay_alu instid0(VALU_DEP_1)
	v_cmpx_ne_u64_e32 0, v[1:2]
	s_xor_b32 s3, exec_lo, s2
	s_cbranch_execz .LBB0_4
; %bb.3:                                ;   in Loop: Header=BB0_2 Depth=1
	v_cvt_f32_u32_e32 v2, s18
	v_cvt_f32_u32_e32 v7, s19
	s_sub_u32 s2, 0, s18
	s_subb_u32 s20, 0, s19
	s_delay_alu instid0(VALU_DEP_1) | instskip(NEXT) | instid1(VALU_DEP_1)
	v_fmac_f32_e32 v2, 0x4f800000, v7
	v_rcp_f32_e32 v2, v2
	s_waitcnt_depctr 0xfff
	v_mul_f32_e32 v2, 0x5f7ffffc, v2
	s_delay_alu instid0(VALU_DEP_1) | instskip(NEXT) | instid1(VALU_DEP_1)
	v_mul_f32_e32 v7, 0x2f800000, v2
	v_trunc_f32_e32 v7, v7
	s_delay_alu instid0(VALU_DEP_1) | instskip(SKIP_1) | instid1(VALU_DEP_2)
	v_fmac_f32_e32 v2, 0xcf800000, v7
	v_cvt_u32_f32_e32 v7, v7
	v_cvt_u32_f32_e32 v2, v2
	s_delay_alu instid0(VALU_DEP_2) | instskip(NEXT) | instid1(VALU_DEP_2)
	v_mul_lo_u32 v8, s2, v7
	v_mul_hi_u32 v9, s2, v2
	v_mul_lo_u32 v10, s20, v2
	s_delay_alu instid0(VALU_DEP_2) | instskip(SKIP_1) | instid1(VALU_DEP_2)
	v_add_nc_u32_e32 v8, v9, v8
	v_mul_lo_u32 v9, s2, v2
	v_add_nc_u32_e32 v8, v8, v10
	s_delay_alu instid0(VALU_DEP_2) | instskip(NEXT) | instid1(VALU_DEP_2)
	v_mul_hi_u32 v10, v2, v9
	v_mul_lo_u32 v11, v2, v8
	v_mul_hi_u32 v12, v2, v8
	v_mul_hi_u32 v13, v7, v9
	v_mul_lo_u32 v9, v7, v9
	v_mul_hi_u32 v14, v7, v8
	v_mul_lo_u32 v8, v7, v8
	v_add_co_u32 v10, vcc_lo, v10, v11
	v_add_co_ci_u32_e32 v11, vcc_lo, 0, v12, vcc_lo
	s_delay_alu instid0(VALU_DEP_2) | instskip(NEXT) | instid1(VALU_DEP_2)
	v_add_co_u32 v9, vcc_lo, v10, v9
	v_add_co_ci_u32_e32 v9, vcc_lo, v11, v13, vcc_lo
	v_add_co_ci_u32_e32 v10, vcc_lo, 0, v14, vcc_lo
	s_delay_alu instid0(VALU_DEP_2) | instskip(NEXT) | instid1(VALU_DEP_2)
	v_add_co_u32 v8, vcc_lo, v9, v8
	v_add_co_ci_u32_e32 v9, vcc_lo, 0, v10, vcc_lo
	s_delay_alu instid0(VALU_DEP_2) | instskip(NEXT) | instid1(VALU_DEP_2)
	v_add_co_u32 v2, vcc_lo, v2, v8
	v_add_co_ci_u32_e32 v7, vcc_lo, v7, v9, vcc_lo
	s_delay_alu instid0(VALU_DEP_2) | instskip(SKIP_1) | instid1(VALU_DEP_3)
	v_mul_hi_u32 v8, s2, v2
	v_mul_lo_u32 v10, s20, v2
	v_mul_lo_u32 v9, s2, v7
	s_delay_alu instid0(VALU_DEP_1) | instskip(SKIP_1) | instid1(VALU_DEP_2)
	v_add_nc_u32_e32 v8, v8, v9
	v_mul_lo_u32 v9, s2, v2
	v_add_nc_u32_e32 v8, v8, v10
	s_delay_alu instid0(VALU_DEP_2) | instskip(NEXT) | instid1(VALU_DEP_2)
	v_mul_hi_u32 v10, v2, v9
	v_mul_lo_u32 v11, v2, v8
	v_mul_hi_u32 v12, v2, v8
	v_mul_hi_u32 v13, v7, v9
	v_mul_lo_u32 v9, v7, v9
	v_mul_hi_u32 v14, v7, v8
	v_mul_lo_u32 v8, v7, v8
	v_add_co_u32 v10, vcc_lo, v10, v11
	v_add_co_ci_u32_e32 v11, vcc_lo, 0, v12, vcc_lo
	s_delay_alu instid0(VALU_DEP_2) | instskip(NEXT) | instid1(VALU_DEP_2)
	v_add_co_u32 v9, vcc_lo, v10, v9
	v_add_co_ci_u32_e32 v9, vcc_lo, v11, v13, vcc_lo
	v_add_co_ci_u32_e32 v10, vcc_lo, 0, v14, vcc_lo
	s_delay_alu instid0(VALU_DEP_2) | instskip(NEXT) | instid1(VALU_DEP_2)
	v_add_co_u32 v8, vcc_lo, v9, v8
	v_add_co_ci_u32_e32 v9, vcc_lo, 0, v10, vcc_lo
	s_delay_alu instid0(VALU_DEP_2) | instskip(NEXT) | instid1(VALU_DEP_2)
	v_add_co_u32 v2, vcc_lo, v2, v8
	v_add_co_ci_u32_e32 v13, vcc_lo, v7, v9, vcc_lo
	s_delay_alu instid0(VALU_DEP_2) | instskip(SKIP_1) | instid1(VALU_DEP_3)
	v_mul_hi_u32 v14, v5, v2
	v_mad_u64_u32 v[9:10], null, v6, v2, 0
	v_mad_u64_u32 v[7:8], null, v5, v13, 0
	;; [unrolled: 1-line block ×3, first 2 shown]
	s_delay_alu instid0(VALU_DEP_2) | instskip(NEXT) | instid1(VALU_DEP_3)
	v_add_co_u32 v2, vcc_lo, v14, v7
	v_add_co_ci_u32_e32 v7, vcc_lo, 0, v8, vcc_lo
	s_delay_alu instid0(VALU_DEP_2) | instskip(NEXT) | instid1(VALU_DEP_2)
	v_add_co_u32 v2, vcc_lo, v2, v9
	v_add_co_ci_u32_e32 v2, vcc_lo, v7, v10, vcc_lo
	v_add_co_ci_u32_e32 v7, vcc_lo, 0, v12, vcc_lo
	s_delay_alu instid0(VALU_DEP_2) | instskip(NEXT) | instid1(VALU_DEP_2)
	v_add_co_u32 v2, vcc_lo, v2, v11
	v_add_co_ci_u32_e32 v9, vcc_lo, 0, v7, vcc_lo
	s_delay_alu instid0(VALU_DEP_2) | instskip(SKIP_1) | instid1(VALU_DEP_3)
	v_mul_lo_u32 v10, s19, v2
	v_mad_u64_u32 v[7:8], null, s18, v2, 0
	v_mul_lo_u32 v11, s18, v9
	s_delay_alu instid0(VALU_DEP_2) | instskip(NEXT) | instid1(VALU_DEP_2)
	v_sub_co_u32 v7, vcc_lo, v5, v7
	v_add3_u32 v8, v8, v11, v10
	s_delay_alu instid0(VALU_DEP_1) | instskip(NEXT) | instid1(VALU_DEP_1)
	v_sub_nc_u32_e32 v10, v6, v8
	v_subrev_co_ci_u32_e64 v10, s2, s19, v10, vcc_lo
	v_add_co_u32 v11, s2, v2, 2
	s_delay_alu instid0(VALU_DEP_1) | instskip(SKIP_3) | instid1(VALU_DEP_3)
	v_add_co_ci_u32_e64 v12, s2, 0, v9, s2
	v_sub_co_u32 v13, s2, v7, s18
	v_sub_co_ci_u32_e32 v8, vcc_lo, v6, v8, vcc_lo
	v_subrev_co_ci_u32_e64 v10, s2, 0, v10, s2
	v_cmp_le_u32_e32 vcc_lo, s18, v13
	s_delay_alu instid0(VALU_DEP_3) | instskip(SKIP_1) | instid1(VALU_DEP_4)
	v_cmp_eq_u32_e64 s2, s19, v8
	v_cndmask_b32_e64 v13, 0, -1, vcc_lo
	v_cmp_le_u32_e32 vcc_lo, s19, v10
	v_cndmask_b32_e64 v14, 0, -1, vcc_lo
	v_cmp_le_u32_e32 vcc_lo, s18, v7
	;; [unrolled: 2-line block ×3, first 2 shown]
	v_cndmask_b32_e64 v15, 0, -1, vcc_lo
	v_cmp_eq_u32_e32 vcc_lo, s19, v10
	s_delay_alu instid0(VALU_DEP_2) | instskip(SKIP_3) | instid1(VALU_DEP_3)
	v_cndmask_b32_e64 v7, v15, v7, s2
	v_cndmask_b32_e32 v10, v14, v13, vcc_lo
	v_add_co_u32 v13, vcc_lo, v2, 1
	v_add_co_ci_u32_e32 v14, vcc_lo, 0, v9, vcc_lo
	v_cmp_ne_u32_e32 vcc_lo, 0, v10
	s_delay_alu instid0(VALU_DEP_2) | instskip(NEXT) | instid1(VALU_DEP_4)
	v_cndmask_b32_e32 v8, v14, v12, vcc_lo
	v_cndmask_b32_e32 v10, v13, v11, vcc_lo
	v_cmp_ne_u32_e32 vcc_lo, 0, v7
	s_delay_alu instid0(VALU_DEP_2)
	v_dual_cndmask_b32 v7, v2, v10 :: v_dual_cndmask_b32 v8, v9, v8
.LBB0_4:                                ;   in Loop: Header=BB0_2 Depth=1
	s_and_not1_saveexec_b32 s2, s3
	s_cbranch_execz .LBB0_6
; %bb.5:                                ;   in Loop: Header=BB0_2 Depth=1
	v_cvt_f32_u32_e32 v2, s18
	s_sub_i32 s3, 0, s18
	s_delay_alu instid0(VALU_DEP_1) | instskip(SKIP_2) | instid1(VALU_DEP_1)
	v_rcp_iflag_f32_e32 v2, v2
	s_waitcnt_depctr 0xfff
	v_mul_f32_e32 v2, 0x4f7ffffe, v2
	v_cvt_u32_f32_e32 v2, v2
	s_delay_alu instid0(VALU_DEP_1) | instskip(NEXT) | instid1(VALU_DEP_1)
	v_mul_lo_u32 v7, s3, v2
	v_mul_hi_u32 v7, v2, v7
	s_delay_alu instid0(VALU_DEP_1) | instskip(NEXT) | instid1(VALU_DEP_1)
	v_add_nc_u32_e32 v2, v2, v7
	v_mul_hi_u32 v2, v5, v2
	s_delay_alu instid0(VALU_DEP_1) | instskip(SKIP_1) | instid1(VALU_DEP_2)
	v_mul_lo_u32 v7, v2, s18
	v_add_nc_u32_e32 v8, 1, v2
	v_sub_nc_u32_e32 v7, v5, v7
	s_delay_alu instid0(VALU_DEP_1) | instskip(SKIP_1) | instid1(VALU_DEP_2)
	v_subrev_nc_u32_e32 v9, s18, v7
	v_cmp_le_u32_e32 vcc_lo, s18, v7
	v_dual_cndmask_b32 v7, v7, v9 :: v_dual_cndmask_b32 v2, v2, v8
	s_delay_alu instid0(VALU_DEP_1) | instskip(NEXT) | instid1(VALU_DEP_2)
	v_cmp_le_u32_e32 vcc_lo, s18, v7
	v_add_nc_u32_e32 v8, 1, v2
	s_delay_alu instid0(VALU_DEP_1)
	v_dual_cndmask_b32 v7, v2, v8 :: v_dual_mov_b32 v8, v1
.LBB0_6:                                ;   in Loop: Header=BB0_2 Depth=1
	s_or_b32 exec_lo, exec_lo, s2
	s_load_b64 s[2:3], s[12:13], 0x0
	s_delay_alu instid0(VALU_DEP_1) | instskip(NEXT) | instid1(VALU_DEP_2)
	v_mul_lo_u32 v2, v8, s18
	v_mul_lo_u32 v11, v7, s19
	v_mad_u64_u32 v[9:10], null, v7, s18, 0
	s_add_u32 s16, s16, 1
	s_addc_u32 s17, s17, 0
	s_add_u32 s12, s12, 8
	s_addc_u32 s13, s13, 0
	;; [unrolled: 2-line block ×3, first 2 shown]
	s_delay_alu instid0(VALU_DEP_1) | instskip(SKIP_1) | instid1(VALU_DEP_2)
	v_add3_u32 v2, v10, v11, v2
	v_sub_co_u32 v9, vcc_lo, v5, v9
	v_sub_co_ci_u32_e32 v2, vcc_lo, v6, v2, vcc_lo
	s_waitcnt lgkmcnt(0)
	s_delay_alu instid0(VALU_DEP_2) | instskip(NEXT) | instid1(VALU_DEP_2)
	v_mul_lo_u32 v10, s3, v9
	v_mul_lo_u32 v2, s2, v2
	v_mad_u64_u32 v[5:6], null, s2, v9, v[3:4]
	v_cmp_ge_u64_e64 s2, s[16:17], s[6:7]
	s_delay_alu instid0(VALU_DEP_1) | instskip(NEXT) | instid1(VALU_DEP_2)
	s_and_b32 vcc_lo, exec_lo, s2
	v_add3_u32 v4, v10, v6, v2
	s_delay_alu instid0(VALU_DEP_3)
	v_mov_b32_e32 v3, v5
	s_cbranch_vccnz .LBB0_9
; %bb.7:                                ;   in Loop: Header=BB0_2 Depth=1
	v_dual_mov_b32 v5, v7 :: v_dual_mov_b32 v6, v8
	s_branch .LBB0_2
.LBB0_8:
	v_dual_mov_b32 v8, v6 :: v_dual_mov_b32 v7, v5
.LBB0_9:
	s_lshl_b64 s[2:3], s[6:7], 3
                                        ; implicit-def: $vgpr10_vgpr11
                                        ; implicit-def: $vgpr22_vgpr23
                                        ; implicit-def: $vgpr34_vgpr35
                                        ; implicit-def: $vgpr18_vgpr19
                                        ; implicit-def: $vgpr14_vgpr15
                                        ; implicit-def: $vgpr26_vgpr27
                                        ; implicit-def: $vgpr38_vgpr39
                                        ; implicit-def: $vgpr42_vgpr43
                                        ; implicit-def: $vgpr46_vgpr47
                                        ; implicit-def: $vgpr50_vgpr51
                                        ; implicit-def: $vgpr30_vgpr31
                                        ; implicit-def: $vgpr54_vgpr55
                                        ; implicit-def: $vgpr58_vgpr59
                                        ; implicit-def: $vgpr62_vgpr63
                                        ; implicit-def: $vgpr74_vgpr75
                                        ; implicit-def: $vgpr86_vgpr87
                                        ; implicit-def: $vgpr70_vgpr71
                                        ; implicit-def: $vgpr66_vgpr67
                                        ; implicit-def: $vgpr78_vgpr79
                                        ; implicit-def: $vgpr90_vgpr91
                                        ; implicit-def: $vgpr94_vgpr95
                                        ; implicit-def: $vgpr98_vgpr99
                                        ; implicit-def: $vgpr102_vgpr103
                                        ; implicit-def: $vgpr82_vgpr83
	s_delay_alu instid0(SALU_CYCLE_1)
	s_add_u32 s2, s10, s2
	s_addc_u32 s3, s11, s3
	s_load_b64 s[2:3], s[2:3], 0x0
	s_load_b64 s[0:1], s[0:1], 0x20
	s_waitcnt lgkmcnt(0)
	v_mul_lo_u32 v5, s2, v8
	v_mul_lo_u32 v6, s3, v7
	v_mad_u64_u32 v[1:2], null, s2, v7, v[3:4]
	v_mul_hi_u32 v3, 0x2302303, v0
	v_cmp_gt_u64_e32 vcc_lo, s[0:1], v[7:8]
	s_delay_alu instid0(VALU_DEP_3) | instskip(NEXT) | instid1(VALU_DEP_3)
	v_add3_u32 v2, v6, v2, v5
                                        ; implicit-def: $vgpr6_vgpr7
	v_mul_u32_u24_e32 v3, 0x75, v3
	s_delay_alu instid0(VALU_DEP_2) | instskip(NEXT) | instid1(VALU_DEP_2)
	v_lshlrev_b64 v[104:105], 4, v[1:2]
	v_sub_nc_u32_e32 v106, v0, v3
                                        ; implicit-def: $vgpr2_vgpr3
	s_and_saveexec_b32 s1, vcc_lo
	s_cbranch_execz .LBB0_13
; %bb.10:
	v_mov_b32_e32 v107, 0
	s_delay_alu instid0(VALU_DEP_3) | instskip(NEXT) | instid1(VALU_DEP_1)
	v_add_co_u32 v2, s0, s8, v104
	v_add_co_ci_u32_e64 v3, s0, s9, v105, s0
	s_delay_alu instid0(VALU_DEP_3) | instskip(SKIP_1) | instid1(VALU_DEP_1)
	v_lshlrev_b64 v[0:1], 4, v[106:107]
	s_mov_b32 s2, exec_lo
                                        ; implicit-def: $vgpr28_vgpr29
                                        ; implicit-def: $vgpr48_vgpr49
                                        ; implicit-def: $vgpr44_vgpr45
                                        ; implicit-def: $vgpr40_vgpr41
                                        ; implicit-def: $vgpr36_vgpr37
                                        ; implicit-def: $vgpr24_vgpr25
                                        ; implicit-def: $vgpr12_vgpr13
                                        ; implicit-def: $vgpr16_vgpr17
                                        ; implicit-def: $vgpr32_vgpr33
                                        ; implicit-def: $vgpr20_vgpr21
                                        ; implicit-def: $vgpr8_vgpr9
                                        ; implicit-def: $vgpr4_vgpr5
	v_add_co_u32 v22, s0, v2, v0
	s_delay_alu instid0(VALU_DEP_1) | instskip(SKIP_4) | instid1(VALU_DEP_1)
	v_add_co_ci_u32_e64 v23, s0, v3, v1, s0
                                        ; implicit-def: $vgpr0_vgpr1
	s_clause 0x1
	global_load_b128 v[80:83], v[22:23], off
	global_load_b128 v[100:103], v[22:23], off offset:2160
	v_add_co_u32 v26, s0, 0x1000, v22
	v_add_co_ci_u32_e64 v27, s0, 0, v23, s0
	v_add_co_u32 v18, s0, 0x2000, v22
	s_delay_alu instid0(VALU_DEP_1) | instskip(SKIP_1) | instid1(VALU_DEP_1)
	v_add_co_ci_u32_e64 v19, s0, 0, v23, s0
	v_add_co_u32 v14, s0, 0x3000, v22
	v_add_co_ci_u32_e64 v15, s0, 0, v23, s0
	v_add_co_u32 v10, s0, 0x4000, v22
	s_delay_alu instid0(VALU_DEP_1) | instskip(SKIP_1) | instid1(VALU_DEP_1)
	v_add_co_ci_u32_e64 v11, s0, 0, v23, s0
	v_add_co_u32 v6, s0, 0x5000, v22
	v_add_co_ci_u32_e64 v7, s0, 0, v23, s0
	v_add_co_u32 v2, s0, 0x6000, v22
	s_clause 0x5
	global_load_b128 v[96:99], v[26:27], off offset:224
	global_load_b128 v[92:95], v[26:27], off offset:2384
	;; [unrolled: 1-line block ×6, first 2 shown]
	v_add_co_ci_u32_e64 v3, s0, 0, v23, s0
	s_clause 0x4
	global_load_b128 v[84:87], v[10:11], off offset:896
	global_load_b128 v[72:75], v[10:11], off offset:3056
	;; [unrolled: 1-line block ×5, first 2 shown]
	v_cmpx_gt_u32_e32 18, v106
; %bb.11:
	s_clause 0xc
	global_load_b128 v[28:31], v[22:23], off offset:1872
	global_load_b128 v[48:51], v[22:23], off offset:4032
	;; [unrolled: 1-line block ×13, first 2 shown]
; %bb.12:
	s_or_b32 exec_lo, exec_lo, s2
.LBB0_13:
	s_delay_alu instid0(SALU_CYCLE_1)
	s_or_b32 exec_lo, exec_lo, s1
	s_waitcnt vmcnt(11)
	v_add_f64 v[107:108], v[100:101], v[80:81]
	s_waitcnt vmcnt(0)
	v_add_f64 v[109:110], v[102:103], -v[54:55]
	s_mov_b32 s42, 0x4267c47c
	s_mov_b32 s28, 0x42a4c3d2
	;; [unrolled: 1-line block ×10, first 2 shown]
	v_add_f64 v[111:112], v[98:99], -v[58:59]
	v_add_f64 v[113:114], v[52:53], v[100:101]
	s_mov_b32 s34, 0x66966769
	s_mov_b32 s35, 0xbfefc445
	s_mov_b32 s6, 0xe00740e9
	s_mov_b32 s10, 0x1ea71119
	s_mov_b32 s12, 0xb2365da1
	s_mov_b32 s14, 0xd0032e0c
	s_mov_b32 s7, 0x3fec55a7
	s_mov_b32 s39, 0x3fe5384d
	s_mov_b32 s21, 0x3fefc445
	s_mov_b32 s27, 0x3fddbe06
	s_mov_b32 s11, 0x3fe22d96
	s_mov_b32 s13, 0xbfd6b1d8
	s_mov_b32 s15, 0xbfe7f3cc
	s_mov_b32 s38, s22
	s_mov_b32 s20, s34
	s_mov_b32 s26, s42
	s_mov_b32 s16, 0x93053d00
	s_mov_b32 s17, 0xbfef11f4
	v_add_f64 v[125:126], v[94:95], -v[62:63]
	v_add_f64 v[127:128], v[56:57], v[96:97]
	s_mov_b32 s2, 0xebaa3ed8
	s_mov_b32 s3, 0x3fbedb7d
	;; [unrolled: 1-line block ×4, first 2 shown]
	v_add_f64 v[107:108], v[96:97], v[107:108]
	v_mul_f64 v[115:116], v[109:110], s[42:43]
	v_mul_f64 v[117:118], v[109:110], s[28:29]
	;; [unrolled: 1-line block ×6, first 2 shown]
	v_add_f64 v[151:152], v[90:91], -v[74:75]
	s_mov_b32 s37, 0x3fcea1e5
	s_mov_b32 s36, s24
	;; [unrolled: 1-line block ×4, first 2 shown]
	v_mul_f64 v[129:130], v[111:112], s[28:29]
	v_mul_f64 v[131:132], v[111:112], s[18:19]
	;; [unrolled: 1-line block ×6, first 2 shown]
	v_cmp_gt_u32_e64 s0, 18, v106
	v_mul_f64 v[153:154], v[125:126], s[34:35]
	v_mul_f64 v[155:156], v[125:126], s[24:25]
	v_mul_f64 v[157:158], v[125:126], s[40:41]
	v_mul_f64 v[159:160], v[125:126], s[26:27]
	v_mul_f64 v[161:162], v[125:126], s[28:29]
	v_mul_f64 v[125:126], v[125:126], s[22:23]
	v_add_f64 v[107:108], v[92:93], v[107:108]
	v_fma_f64 v[139:140], v[113:114], s[6:7], v[115:116]
	v_fma_f64 v[141:142], v[113:114], s[10:11], v[117:118]
	v_fma_f64 v[117:118], v[113:114], s[10:11], -v[117:118]
	v_fma_f64 v[143:144], v[113:114], s[12:13], v[119:120]
	v_fma_f64 v[119:120], v[113:114], s[12:13], -v[119:120]
	v_fma_f64 v[145:146], v[113:114], s[14:15], v[121:122]
	v_fma_f64 v[147:148], v[113:114], s[16:17], v[123:124]
	v_fma_f64 v[123:124], v[113:114], s[16:17], -v[123:124]
	v_fma_f64 v[121:122], v[113:114], s[14:15], -v[121:122]
	;; [unrolled: 1-line block ×3, first 2 shown]
	v_fma_f64 v[109:110], v[113:114], s[2:3], v[109:110]
	v_fma_f64 v[113:114], v[113:114], s[6:7], -v[115:116]
	v_add_f64 v[115:116], v[60:61], v[92:93]
	v_fma_f64 v[163:164], v[127:128], s[10:11], v[129:130]
	v_fma_f64 v[129:130], v[127:128], s[10:11], -v[129:130]
	v_fma_f64 v[165:166], v[127:128], s[12:13], v[131:132]
	v_fma_f64 v[131:132], v[127:128], s[12:13], -v[131:132]
	;; [unrolled: 2-line block ×6, first 2 shown]
	v_mul_f64 v[175:176], v[151:152], s[18:19]
	v_mul_f64 v[177:178], v[151:152], s[38:39]
	;; [unrolled: 1-line block ×6, first 2 shown]
	v_add_f64 v[107:108], v[88:89], v[107:108]
	v_add_f64 v[127:128], v[80:81], v[139:140]
	;; [unrolled: 1-line block ×14, first 2 shown]
	v_add_f64 v[149:150], v[78:79], -v[86:87]
	v_fma_f64 v[185:186], v[115:116], s[2:3], v[153:154]
	v_fma_f64 v[153:154], v[115:116], s[2:3], -v[153:154]
	v_fma_f64 v[187:188], v[115:116], s[16:17], v[155:156]
	v_fma_f64 v[155:156], v[115:116], s[16:17], -v[155:156]
	;; [unrolled: 2-line block ×6, first 2 shown]
	v_add_f64 v[107:108], v[76:77], v[107:108]
	v_add_f64 v[125:126], v[163:164], v[127:128]
	;; [unrolled: 1-line block ×14, first 2 shown]
	v_add_f64 v[133:134], v[66:67], -v[70:71]
	v_mul_f64 v[137:138], v[149:150], s[22:23]
	v_mul_f64 v[141:142], v[149:150], s[20:21]
	v_mul_f64 v[145:146], v[149:150], s[36:37]
	v_mul_f64 v[147:148], v[149:150], s[26:27]
	v_fma_f64 v[163:164], v[113:114], s[12:13], v[175:176]
	v_fma_f64 v[165:166], v[113:114], s[12:13], -v[175:176]
	v_fma_f64 v[167:168], v[113:114], s[14:15], v[177:178]
	v_fma_f64 v[171:172], v[113:114], s[6:7], v[179:180]
	v_fma_f64 v[173:174], v[113:114], s[6:7], -v[179:180]
	v_fma_f64 v[175:176], v[113:114], s[2:3], v[181:182]
	v_fma_f64 v[179:180], v[113:114], s[16:17], v[183:184]
	v_mul_f64 v[143:144], v[149:150], s[28:29]
	v_mul_f64 v[149:150], v[149:150], s[18:19]
	v_fma_f64 v[169:170], v[113:114], s[14:15], -v[177:178]
	v_fma_f64 v[177:178], v[113:114], s[2:3], -v[181:182]
	;; [unrolled: 1-line block ×3, first 2 shown]
	v_fma_f64 v[183:184], v[113:114], s[10:11], v[151:152]
	v_fma_f64 v[113:114], v[113:114], s[10:11], -v[151:152]
	v_add_f64 v[107:108], v[64:65], v[107:108]
	v_add_f64 v[125:126], v[185:186], v[125:126]
	;; [unrolled: 1-line block ×14, first 2 shown]
	v_mul_f64 v[151:152], v[133:134], s[24:25]
	v_mul_f64 v[153:154], v[133:134], s[26:27]
	;; [unrolled: 1-line block ×6, first 2 shown]
	v_fma_f64 v[161:162], v[129:130], s[14:15], v[137:138]
	v_fma_f64 v[185:186], v[129:130], s[2:3], v[141:142]
	;; [unrolled: 1-line block ×4, first 2 shown]
	v_fma_f64 v[137:138], v[129:130], s[14:15], -v[137:138]
	v_fma_f64 v[141:142], v[129:130], s[2:3], -v[141:142]
	v_fma_f64 v[187:188], v[129:130], s[10:11], v[143:144]
	v_fma_f64 v[143:144], v[129:130], s[10:11], -v[143:144]
	v_fma_f64 v[145:146], v[129:130], s[16:17], -v[145:146]
	;; [unrolled: 1-line block ×3, first 2 shown]
	v_fma_f64 v[193:194], v[129:130], s[12:13], v[149:150]
	v_fma_f64 v[129:130], v[129:130], s[12:13], -v[149:150]
	v_add_f64 v[107:108], v[68:69], v[107:108]
	v_add_f64 v[125:126], v[163:164], v[125:126]
	;; [unrolled: 1-line block ×13, first 2 shown]
	v_fma_f64 v[121:122], v[123:124], s[16:17], v[151:152]
	v_fma_f64 v[149:150], v[123:124], s[16:17], -v[151:152]
	v_fma_f64 v[151:152], v[123:124], s[6:7], v[153:154]
	v_fma_f64 v[153:154], v[123:124], s[6:7], -v[153:154]
	;; [unrolled: 2-line block ×6, first 2 shown]
	v_add_f64 v[107:108], v[84:85], v[107:108]
	v_add_f64 v[125:126], v[161:162], v[125:126]
	;; [unrolled: 1-line block ×27, first 2 shown]
	s_delay_alu instid0(VALU_DEP_1) | instskip(NEXT) | instid1(VALU_DEP_1)
	v_add_f64 v[107:108], v[56:57], v[107:108]
	v_add_f64 v[123:124], v[52:53], v[107:108]
	v_mad_u32_u24 v107, 0x68, v106, 0
	ds_store_2addr_b64 v107, v[127:128], v[129:130] offset0:4 offset1:5
	ds_store_2addr_b64 v107, v[131:132], v[111:112] offset0:6 offset1:7
	ds_store_2addr_b64 v107, v[113:114], v[119:120] offset0:8 offset1:9
	ds_store_2addr_b64 v107, v[115:116], v[117:118] offset0:10 offset1:11
	ds_store_2addr_b64 v107, v[125:126], v[109:110] offset0:2 offset1:3
	ds_store_2addr_b64 v107, v[123:124], v[121:122] offset1:1
	ds_store_b64 v107, v[80:81] offset:96
	s_and_saveexec_b32 s1, s0
	s_cbranch_execz .LBB0_15
; %bb.14:
	v_add_f64 v[80:81], v[48:49], v[28:29]
	v_add_f64 v[108:109], v[0:1], v[48:49]
	;; [unrolled: 1-line block ×3, first 2 shown]
	v_add_f64 v[112:113], v[50:51], -v[2:3]
	v_add_f64 v[124:125], v[8:9], v[40:41]
	v_add_f64 v[126:127], v[46:47], -v[6:7]
	v_add_f64 v[150:151], v[42:43], -v[10:11]
	v_add_f64 v[80:81], v[44:45], v[80:81]
	v_mul_f64 v[114:115], v[108:109], s[16:17]
	v_mul_f64 v[116:117], v[108:109], s[14:15]
	;; [unrolled: 1-line block ×18, first 2 shown]
	v_add_f64 v[80:81], v[40:41], v[80:81]
	v_fma_f64 v[138:139], v[112:113], s[36:37], v[114:115]
	v_fma_f64 v[114:115], v[112:113], s[24:25], v[114:115]
	;; [unrolled: 1-line block ×12, first 2 shown]
	v_add_f64 v[112:113], v[20:21], v[36:37]
	v_fma_f64 v[162:163], v[126:127], s[42:43], v[128:129]
	v_fma_f64 v[128:129], v[126:127], s[26:27], v[128:129]
	;; [unrolled: 1-line block ×24, first 2 shown]
	v_add_f64 v[80:81], v[36:37], v[80:81]
	v_add_f64 v[126:127], v[28:29], v[138:139]
	;; [unrolled: 1-line block ×14, first 2 shown]
	v_add_f64 v[148:149], v[38:39], -v[22:23]
	v_mul_f64 v[174:175], v[112:113], s[10:11]
	v_mul_f64 v[176:177], v[112:113], s[16:17]
	;; [unrolled: 1-line block ×6, first 2 shown]
	v_add_f64 v[80:81], v[24:25], v[80:81]
	v_add_f64 v[126:127], v[162:163], v[126:127]
	v_add_f64 v[114:115], v[128:129], v[114:115]
	v_add_f64 v[128:129], v[164:165], v[138:139]
	v_add_f64 v[116:117], v[130:131], v[116:117]
	v_add_f64 v[130:131], v[166:167], v[140:141]
	v_add_f64 v[134:135], v[134:135], v[142:143]
	v_add_f64 v[136:137], v[136:137], v[144:145]
	v_add_f64 v[118:119], v[132:133], v[118:119]
	v_add_f64 v[120:121], v[168:169], v[120:121]
	v_add_f64 v[122:123], v[170:171], v[122:123]
	v_add_f64 v[110:111], v[110:111], v[146:147]
	v_add_f64 v[28:29], v[172:173], v[28:29]
	v_add_f64 v[132:133], v[16:17], v[12:13]
	v_add_f64 v[138:139], v[26:27], -v[34:35]
	v_mul_f64 v[140:141], v[108:109], s[12:13]
	v_mul_f64 v[142:143], v[108:109], s[6:7]
	;; [unrolled: 1-line block ×5, first 2 shown]
	v_fma_f64 v[162:163], v[148:149], s[28:29], v[174:175]
	v_fma_f64 v[164:165], v[148:149], s[30:31], v[174:175]
	;; [unrolled: 1-line block ×10, first 2 shown]
	v_mul_f64 v[108:109], v[108:109], s[14:15]
	v_fma_f64 v[182:183], v[148:149], s[40:41], v[112:113]
	v_fma_f64 v[112:113], v[148:149], s[18:19], v[112:113]
	v_add_f64 v[80:81], v[12:13], v[80:81]
	v_add_f64 v[126:127], v[184:185], v[126:127]
	;; [unrolled: 1-line block ×13, first 2 shown]
	v_add_f64 v[124:125], v[14:15], -v[18:19]
	v_mul_f64 v[148:149], v[132:133], s[2:3]
	v_mul_f64 v[152:153], v[132:133], s[12:13]
	;; [unrolled: 1-line block ×6, first 2 shown]
	v_fma_f64 v[160:161], v[138:139], s[40:41], v[140:141]
	v_fma_f64 v[140:141], v[138:139], s[18:19], v[140:141]
	;; [unrolled: 1-line block ×12, first 2 shown]
	v_add_f64 v[80:81], v[16:17], v[80:81]
	v_add_f64 v[126:127], v[162:163], v[126:127]
	;; [unrolled: 1-line block ×13, first 2 shown]
	v_fma_f64 v[112:113], v[124:125], s[34:35], v[148:149]
	v_fma_f64 v[138:139], v[124:125], s[20:21], v[148:149]
	;; [unrolled: 1-line block ×12, first 2 shown]
	v_add_f64 v[80:81], v[32:33], v[80:81]
	v_add_f64 v[126:127], v[160:161], v[126:127]
	;; [unrolled: 1-line block ×26, first 2 shown]
	v_add_nc_u32_e32 v125, 0x2f98, v107
	v_add_nc_u32_e32 v132, 0x2fa8, v107
	;; [unrolled: 1-line block ×6, first 2 shown]
	v_add_f64 v[80:81], v[8:9], v[80:81]
	s_delay_alu instid0(VALU_DEP_1) | instskip(NEXT) | instid1(VALU_DEP_1)
	v_add_f64 v[80:81], v[4:5], v[80:81]
	v_add_f64 v[80:81], v[0:1], v[80:81]
	ds_store_2addr_b64 v125, v[130:131], v[128:129] offset1:1
	ds_store_2addr_b64 v132, v[118:119], v[116:117] offset1:1
	;; [unrolled: 1-line block ×6, first 2 shown]
	ds_store_b64 v107, v[28:29] offset:12264
.LBB0_15:
	s_or_b32 exec_lo, exec_lo, s1
	v_add_f64 v[28:29], v[102:103], v[82:83]
	v_add_f64 v[52:53], v[100:101], -v[52:53]
	v_add_f64 v[56:57], v[96:97], -v[56:57]
	v_add_f64 v[80:81], v[54:55], v[102:103]
	v_add_f64 v[60:61], v[92:93], -v[60:61]
	v_add_f64 v[92:93], v[58:59], v[98:99]
	v_add_f64 v[72:73], v[88:89], -v[72:73]
	v_add_f64 v[76:77], v[76:77], -v[84:85]
	;; [unrolled: 1-line block ×3, first 2 shown]
	s_waitcnt lgkmcnt(0)
	s_barrier
	buffer_gl0_inv
	v_add_f64 v[28:29], v[98:99], v[28:29]
	v_mul_f64 v[96:97], v[52:53], s[42:43]
	v_mul_f64 v[100:101], v[52:53], s[28:29]
	;; [unrolled: 1-line block ×20, first 2 shown]
	v_add_f64 v[28:29], v[94:95], v[28:29]
	v_fma_f64 v[120:121], v[80:81], s[6:7], -v[96:97]
	v_fma_f64 v[122:123], v[80:81], s[10:11], -v[100:101]
	v_fma_f64 v[100:101], v[80:81], s[10:11], v[100:101]
	v_fma_f64 v[124:125], v[80:81], s[12:13], -v[102:103]
	v_fma_f64 v[102:103], v[80:81], s[12:13], v[102:103]
	v_fma_f64 v[126:127], v[80:81], s[14:15], -v[108:109]
	v_fma_f64 v[128:129], v[80:81], s[16:17], -v[110:111]
	v_fma_f64 v[110:111], v[80:81], s[16:17], v[110:111]
	v_fma_f64 v[108:109], v[80:81], s[14:15], v[108:109]
	;; [unrolled: 1-line block ×3, first 2 shown]
	v_fma_f64 v[52:53], v[80:81], s[2:3], -v[52:53]
	v_fma_f64 v[80:81], v[80:81], s[6:7], v[96:97]
	v_add_f64 v[94:95], v[62:63], v[94:95]
	v_mul_f64 v[96:97], v[60:61], s[24:25]
	v_mul_f64 v[60:61], v[60:61], s[22:23]
	v_fma_f64 v[138:139], v[92:93], s[10:11], -v[98:99]
	v_fma_f64 v[98:99], v[92:93], s[10:11], v[98:99]
	v_fma_f64 v[140:141], v[92:93], s[12:13], -v[112:113]
	v_fma_f64 v[112:113], v[92:93], s[12:13], v[112:113]
	;; [unrolled: 2-line block ×6, first 2 shown]
	v_add_f64 v[28:29], v[90:91], v[28:29]
	v_add_f64 v[92:93], v[82:83], v[120:121]
	v_add_f64 v[120:121], v[82:83], v[122:123]
	v_add_f64 v[100:101], v[82:83], v[100:101]
	v_add_f64 v[122:123], v[82:83], v[124:125]
	v_add_f64 v[102:103], v[82:83], v[102:103]
	v_add_f64 v[124:125], v[82:83], v[126:127]
	v_add_f64 v[126:127], v[82:83], v[128:129]
	v_add_f64 v[110:111], v[82:83], v[110:111]
	v_add_f64 v[108:109], v[82:83], v[108:109]
	v_add_f64 v[128:129], v[82:83], v[130:131]
	v_add_f64 v[52:53], v[82:83], v[52:53]
	v_add_f64 v[80:81], v[82:83], v[80:81]
	v_add_f64 v[82:83], v[74:75], v[90:91]
	v_mul_f64 v[90:91], v[72:73], s[38:39]
	v_mul_f64 v[130:131], v[72:73], s[26:27]
	;; [unrolled: 1-line block ×3, first 2 shown]
	v_fma_f64 v[154:155], v[94:95], s[2:3], -v[88:89]
	v_fma_f64 v[88:89], v[94:95], s[2:3], v[88:89]
	v_fma_f64 v[156:157], v[94:95], s[16:17], -v[96:97]
	v_fma_f64 v[96:97], v[94:95], s[16:17], v[96:97]
	;; [unrolled: 2-line block ×6, first 2 shown]
	v_add_f64 v[28:29], v[78:79], v[28:29]
	v_add_f64 v[92:93], v[138:139], v[92:93]
	;; [unrolled: 1-line block ×14, first 2 shown]
	v_mul_f64 v[98:99], v[76:77], s[28:29]
	v_mul_f64 v[114:115], v[76:77], s[36:37]
	;; [unrolled: 1-line block ×3, first 2 shown]
	v_fma_f64 v[122:123], v[82:83], s[12:13], -v[84:85]
	v_fma_f64 v[84:85], v[82:83], s[12:13], v[84:85]
	v_fma_f64 v[124:125], v[82:83], s[14:15], -v[90:91]
	v_fma_f64 v[90:91], v[82:83], s[14:15], v[90:91]
	;; [unrolled: 2-line block ×6, first 2 shown]
	v_add_f64 v[28:29], v[66:67], v[28:29]
	v_add_f64 v[82:83], v[154:155], v[92:93]
	;; [unrolled: 1-line block ×13, first 2 shown]
	v_mul_f64 v[110:111], v[64:65], s[30:31]
	v_mul_f64 v[116:117], v[64:65], s[18:19]
	v_fma_f64 v[120:121], v[78:79], s[14:15], -v[68:69]
	v_fma_f64 v[68:69], v[78:79], s[14:15], v[68:69]
	v_fma_f64 v[134:135], v[78:79], s[10:11], -v[98:99]
	v_fma_f64 v[98:99], v[78:79], s[10:11], v[98:99]
	;; [unrolled: 2-line block ×4, first 2 shown]
	v_add_f64 v[28:29], v[70:71], v[28:29]
	v_mul_f64 v[70:71], v[64:65], s[24:25]
	v_add_f64 v[90:91], v[90:91], v[94:95]
	v_add_f64 v[94:95], v[138:139], v[100:101]
	;; [unrolled: 1-line block ×7, first 2 shown]
	v_fma_f64 v[108:109], v[66:67], s[10:11], -v[110:111]
	v_fma_f64 v[110:111], v[66:67], s[10:11], v[110:111]
	v_fma_f64 v[112:113], v[66:67], s[12:13], -v[116:117]
	v_fma_f64 v[116:117], v[66:67], s[12:13], v[116:117]
	v_add_f64 v[28:29], v[86:87], v[28:29]
	v_mul_f64 v[86:87], v[76:77], s[20:21]
	v_mul_f64 v[76:77], v[76:77], s[18:19]
	v_add_f64 v[60:61], v[118:119], v[60:61]
	v_add_f64 v[72:73], v[98:99], v[72:73]
	;; [unrolled: 1-line block ×5, first 2 shown]
	v_mul_f64 v[80:81], v[64:65], s[26:27]
	v_mul_f64 v[88:89], v[64:65], s[22:23]
	;; [unrolled: 1-line block ×3, first 2 shown]
	v_fma_f64 v[132:133], v[78:79], s[2:3], -v[86:87]
	v_fma_f64 v[86:87], v[78:79], s[2:3], v[86:87]
	v_fma_f64 v[148:149], v[78:79], s[12:13], -v[76:77]
	v_fma_f64 v[76:77], v[78:79], s[12:13], v[76:77]
	v_add_f64 v[78:79], v[122:123], v[82:83]
	v_add_f64 v[82:83], v[124:125], v[92:93]
	;; [unrolled: 1-line block ×6, first 2 shown]
	v_fma_f64 v[74:75], v[66:67], s[16:17], -v[70:71]
	v_fma_f64 v[70:71], v[66:67], s[16:17], v[70:71]
	v_fma_f64 v[84:85], v[66:67], s[6:7], -v[80:81]
	v_fma_f64 v[80:81], v[66:67], s[6:7], v[80:81]
	;; [unrolled: 2-line block ×4, first 2 shown]
	v_add_f64 v[66:67], v[120:121], v[78:79]
	v_add_f64 v[78:79], v[132:133], v[82:83]
	;; [unrolled: 1-line block ×21, first 2 shown]
	v_mad_i32_i24 v80, 0xffffffa0, v106, v107
	v_add_nc_u32_e32 v81, 0x75, v106
	s_delay_alu instid0(VALU_DEP_2)
	v_add_nc_u32_e32 v82, 0xc00, v80
	v_add_nc_u32_e32 v84, 0x2400, v80
	;; [unrolled: 1-line block ×6, first 2 shown]
	v_add_f64 v[114:115], v[54:55], v[28:29]
	v_add_f64 v[116:117], v[70:71], v[58:59]
	ds_load_2addr_b64 v[52:55], v80 offset1:117
	ds_load_b64 v[28:29], v80 offset:13104
	ds_load_2addr_b64 v[56:59], v82 offset0:84 offset1:201
	ds_load_2addr_b64 v[76:79], v84 offset0:18 offset1:135
	ds_load_2addr_b64 v[72:75], v85 offset0:62 offset1:179
	ds_load_2addr_b64 v[60:63], v83 offset0:106 offset1:223
	ds_load_2addr_b64 v[68:71], v86 offset0:124 offset1:241
	ds_load_2addr_b64 v[64:67], v87 offset0:40 offset1:157
	s_waitcnt lgkmcnt(0)
	s_barrier
	buffer_gl0_inv
	ds_store_2addr_b64 v107, v[108:109], v[92:93] offset0:4 offset1:5
	ds_store_2addr_b64 v107, v[94:95], v[110:111] offset0:6 offset1:7
	;; [unrolled: 1-line block ×4, first 2 shown]
	ds_store_2addr_b64 v107, v[114:115], v[96:97] offset1:1
	ds_store_2addr_b64 v107, v[98:99], v[102:103] offset0:2 offset1:3
	ds_store_b64 v107, v[116:117] offset:96
	s_and_saveexec_b32 s33, s0
	s_cbranch_execz .LBB0_17
; %bb.16:
	v_add_f64 v[88:89], v[50:51], v[30:31]
	v_add_f64 v[0:1], v[48:49], -v[0:1]
	s_mov_b32 s26, 0x42a4c3d2
	s_mov_b32 s12, 0x2ef20147
	;; [unrolled: 1-line block ×10, first 2 shown]
	v_add_f64 v[4:5], v[44:45], -v[4:5]
	v_add_f64 v[44:45], v[2:3], v[50:51]
	s_mov_b32 s28, 0x66966769
	s_mov_b32 s29, 0xbfefc445
	;; [unrolled: 1-line block ×16, first 2 shown]
	v_add_f64 v[8:9], v[40:41], -v[8:9]
	v_add_f64 v[40:41], v[6:7], v[46:47]
	s_mov_b32 s35, 0x3fedeba7
	s_mov_b32 s34, s12
	v_add_f64 v[20:21], v[36:37], -v[20:21]
	s_mov_b32 s36, s22
	v_add_f64 v[24:25], v[24:25], -v[32:33]
	v_add_f64 v[12:13], v[12:13], -v[16:17]
	v_add_f64 v[88:89], v[46:47], v[88:89]
	v_mul_f64 v[50:51], v[0:1], s[10:11]
	v_mul_f64 v[90:91], v[0:1], s[12:13]
	;; [unrolled: 1-line block ×4, first 2 shown]
	s_mov_b32 s11, 0x3fddbe06
	v_mul_f64 v[46:47], v[4:5], s[26:27]
	v_mul_f64 v[96:97], v[4:5], s[12:13]
	;; [unrolled: 1-line block ×10, first 2 shown]
	s_mov_b32 s35, 0x3fea55e2
	s_mov_b32 s34, s26
	v_mul_f64 v[32:33], v[20:21], s[12:13]
	v_mul_f64 v[137:138], v[20:21], s[36:37]
	v_add_f64 v[88:89], v[42:43], v[88:89]
	v_fma_f64 v[107:108], v[44:45], s[0:1], -v[50:51]
	v_fma_f64 v[111:112], v[44:45], s[14:15], -v[90:91]
	v_fma_f64 v[90:91], v[44:45], s[14:15], v[90:91]
	v_fma_f64 v[113:114], v[44:45], s[16:17], -v[92:93]
	v_fma_f64 v[115:116], v[44:45], s[20:21], -v[94:95]
	v_fma_f64 v[94:95], v[44:45], s[20:21], v[94:95]
	v_fma_f64 v[92:93], v[44:45], s[16:17], v[92:93]
	v_add_f64 v[42:43], v[10:11], v[42:43]
	v_mul_f64 v[139:140], v[20:21], s[34:35]
	v_mul_f64 v[16:17], v[24:25], s[18:19]
	v_fma_f64 v[125:126], v[40:41], s[6:7], -v[46:47]
	v_fma_f64 v[46:47], v[40:41], s[6:7], v[46:47]
	v_fma_f64 v[127:128], v[40:41], s[14:15], -v[96:97]
	v_fma_f64 v[96:97], v[40:41], s[14:15], v[96:97]
	;; [unrolled: 2-line block ×6, first 2 shown]
	v_add_f64 v[48:49], v[38:39], v[88:89]
	v_mul_f64 v[88:89], v[0:1], s[26:27]
	v_mul_f64 v[0:1], v[0:1], s[28:29]
	v_add_f64 v[40:41], v[30:31], v[107:108]
	v_add_f64 v[90:91], v[30:31], v[90:91]
	v_add_f64 v[38:39], v[22:23], v[38:39]
	v_add_f64 v[94:95], v[30:31], v[94:95]
	v_add_f64 v[92:93], v[30:31], v[92:93]
	v_fma_f64 v[141:142], v[42:43], s[2:3], -v[36:37]
	v_fma_f64 v[36:37], v[42:43], s[2:3], v[36:37]
	v_fma_f64 v[145:146], v[42:43], s[14:15], -v[119:120]
	v_fma_f64 v[119:120], v[42:43], s[14:15], v[119:120]
	;; [unrolled: 2-line block ×4, first 2 shown]
	v_add_f64 v[48:49], v[26:27], v[48:49]
	v_fma_f64 v[109:110], v[44:45], s[6:7], -v[88:89]
	v_fma_f64 v[88:89], v[44:45], s[6:7], v[88:89]
	v_fma_f64 v[117:118], v[44:45], s[2:3], v[0:1]
	v_fma_f64 v[0:1], v[44:45], s[2:3], -v[0:1]
	v_fma_f64 v[44:45], v[44:45], s[0:1], v[50:51]
	v_mul_f64 v[50:51], v[8:9], s[22:23]
	v_mul_f64 v[8:9], v[8:9], s[10:11]
	v_add_f64 v[40:41], v[125:126], v[40:41]
	v_add_f64 v[90:91], v[100:101], v[90:91]
	;; [unrolled: 1-line block ×5, first 2 shown]
	v_mul_f64 v[102:103], v[24:25], s[12:13]
	v_fma_f64 v[125:126], v[38:39], s[20:21], v[137:138]
	v_add_f64 v[48:49], v[14:15], v[48:49]
	v_add_f64 v[107:108], v[30:31], v[109:110]
	;; [unrolled: 1-line block ×9, first 2 shown]
	v_mul_f64 v[44:45], v[20:21], s[30:31]
	v_mul_f64 v[117:118], v[20:21], s[28:29]
	;; [unrolled: 1-line block ×3, first 2 shown]
	v_fma_f64 v[143:144], v[42:43], s[20:21], -v[50:51]
	v_fma_f64 v[50:51], v[42:43], s[20:21], v[50:51]
	v_fma_f64 v[151:152], v[42:43], s[0:1], -v[8:9]
	v_fma_f64 v[8:9], v[42:43], s[0:1], v[8:9]
	v_add_f64 v[4:5], v[123:124], v[4:5]
	v_add_f64 v[92:93], v[121:122], v[92:93]
	;; [unrolled: 1-line block ×12, first 2 shown]
	v_mul_f64 v[46:47], v[24:25], s[26:27]
	v_mul_f64 v[98:99], v[24:25], s[36:37]
	v_fma_f64 v[109:110], v[38:39], s[14:15], -v[32:33]
	v_fma_f64 v[32:33], v[38:39], s[14:15], v[32:33]
	v_fma_f64 v[111:112], v[38:39], s[16:17], -v[44:45]
	v_fma_f64 v[44:45], v[38:39], s[16:17], v[44:45]
	;; [unrolled: 2-line block ×3, first 2 shown]
	v_fma_f64 v[117:118], v[38:39], s[20:21], -v[137:138]
	v_fma_f64 v[127:128], v[38:39], s[6:7], -v[139:140]
	v_fma_f64 v[129:130], v[38:39], s[6:7], v[139:140]
	v_fma_f64 v[131:132], v[38:39], s[0:1], -v[20:21]
	v_fma_f64 v[20:21], v[38:39], s[0:1], v[20:21]
	v_add_f64 v[38:39], v[141:142], v[40:41]
	v_add_f64 v[8:9], v[8:9], v[90:91]
	v_mul_f64 v[18:19], v[12:13], s[22:23]
	v_fma_f64 v[133:134], v[26:27], s[14:15], -v[102:103]
	v_fma_f64 v[102:103], v[26:27], s[14:15], v[102:103]
	v_add_f64 v[48:49], v[34:35], v[48:49]
	v_mul_f64 v[34:35], v[24:25], s[24:25]
	v_mul_f64 v[24:25], v[24:25], s[10:11]
	v_add_f64 v[40:41], v[143:144], v[42:43]
	v_add_f64 v[42:43], v[50:51], v[88:89]
	v_add_f64 v[50:51], v[151:152], v[96:97]
	v_add_f64 v[88:89], v[147:148], v[100:101]
	v_add_f64 v[90:91], v[149:150], v[107:108]
	v_add_f64 v[94:95], v[119:120], v[94:95]
	v_add_f64 v[0:1], v[145:146], v[0:1]
	v_add_f64 v[30:31], v[36:37], v[30:31]
	v_mul_f64 v[36:37], v[12:13], s[18:19]
	v_mul_f64 v[96:97], v[12:13], s[12:13]
	;; [unrolled: 1-line block ×3, first 2 shown]
	v_fma_f64 v[107:108], v[26:27], s[16:17], -v[16:17]
	v_fma_f64 v[16:17], v[26:27], s[16:17], v[16:17]
	v_fma_f64 v[121:122], v[26:27], s[6:7], -v[46:47]
	v_fma_f64 v[46:47], v[26:27], s[6:7], v[46:47]
	;; [unrolled: 2-line block ×3, first 2 shown]
	v_add_f64 v[4:5], v[129:130], v[4:5]
	v_add_f64 v[8:9], v[115:116], v[8:9]
	;; [unrolled: 1-line block ×3, first 2 shown]
	v_mul_f64 v[48:49], v[12:13], s[34:35]
	v_mul_f64 v[12:13], v[12:13], s[10:11]
	v_fma_f64 v[119:120], v[26:27], s[2:3], -v[34:35]
	v_fma_f64 v[34:35], v[26:27], s[2:3], v[34:35]
	v_fma_f64 v[135:136], v[26:27], s[0:1], -v[24:25]
	v_fma_f64 v[24:25], v[26:27], s[0:1], v[24:25]
	v_add_f64 v[26:27], v[109:110], v[38:39]
	v_add_f64 v[38:39], v[111:112], v[40:41]
	;; [unrolled: 1-line block ×9, first 2 shown]
	v_fma_f64 v[92:93], v[14:15], s[14:15], -v[96:97]
	v_fma_f64 v[94:95], v[14:15], s[14:15], v[96:97]
	v_fma_f64 v[96:97], v[14:15], s[2:3], -v[100:101]
	v_fma_f64 v[100:101], v[14:15], s[2:3], v[100:101]
	v_add_f64 v[4:5], v[102:103], v[4:5]
	v_add_f64 v[8:9], v[98:99], v[8:9]
	;; [unrolled: 1-line block ×4, first 2 shown]
	v_fma_f64 v[30:31], v[14:15], s[20:21], -v[18:19]
	v_fma_f64 v[18:19], v[14:15], s[20:21], v[18:19]
	v_fma_f64 v[32:33], v[14:15], s[16:17], -v[36:37]
	v_fma_f64 v[36:37], v[14:15], s[16:17], v[36:37]
	;; [unrolled: 2-line block ×4, first 2 shown]
	v_add_f64 v[14:15], v[107:108], v[26:27]
	v_add_f64 v[26:27], v[119:120], v[38:39]
	;; [unrolled: 1-line block ×24, first 2 shown]
	v_mad_u32_u24 v10, 0x68, v81, 0
	ds_store_2addr_b64 v10, v[22:23], v[26:27] offset0:4 offset1:5
	ds_store_2addr_b64 v10, v[30:31], v[4:5] offset0:6 offset1:7
	;; [unrolled: 1-line block ×4, first 2 shown]
	ds_store_2addr_b64 v10, v[2:3], v[14:15] offset1:1
	ds_store_2addr_b64 v10, v[16:17], v[0:1] offset0:2 offset1:3
	ds_store_b64 v10, v[6:7] offset:96
.LBB0_17:
	s_or_b32 exec_lo, exec_lo, s33
	v_and_b32_e32 v27, 0xff, v106
	v_add_nc_u32_e32 v32, 0xea, v106
	v_and_b32_e32 v51, 0xff, v81
	v_add_nc_u32_e32 v0, 0x15f, v106
	v_add_nc_u32_e32 v1, 0x1d4, v106
	v_mul_lo_u16 v3, 0x4f, v27
	v_and_b32_e32 v4, 0xffff, v32
	v_mul_lo_u16 v5, 0x4f, v51
	v_and_b32_e32 v2, 0xffff, v0
	s_waitcnt lgkmcnt(0)
	v_lshrrev_b16 v139, 10, v3
	v_and_b32_e32 v3, 0xffff, v1
	v_lshrrev_b16 v140, 10, v5
	v_mul_u32_u24_e32 v5, 0x4ec5, v4
	v_mul_u32_u24_e32 v6, 0x4ec5, v2
	v_mul_lo_u16 v7, v139, 13
	v_mul_u32_u24_e32 v9, 0x4ec5, v3
	v_mul_lo_u16 v8, v140, 13
	v_lshrrev_b32_e32 v141, 18, v5
	v_lshrrev_b32_e32 v142, 18, v6
	v_sub_nc_u16 v5, v106, v7
	v_lshrrev_b32_e32 v143, 18, v9
	v_sub_nc_u16 v6, v81, v8
	v_mul_lo_u16 v7, v141, 13
	v_mul_lo_u16 v8, v142, 13
	v_and_b32_e32 v144, 0xff, v5
	v_mul_lo_u16 v5, v143, 13
	v_and_b32_e32 v145, 0xff, v6
	v_sub_nc_u16 v6, v32, v7
	v_sub_nc_u16 v7, v0, v8
	v_lshlrev_b32_e32 v9, 5, v144
	v_sub_nc_u16 v13, v1, v5
	v_lshlrev_b32_e32 v17, 5, v145
	v_and_b32_e32 v146, 0xffff, v6
	v_and_b32_e32 v147, 0xffff, v7
	s_barrier
	v_and_b32_e32 v148, 0xffff, v13
	buffer_gl0_inv
	v_lshlrev_b32_e32 v25, 5, v146
	v_lshlrev_b32_e32 v26, 5, v147
	s_clause 0x1
	global_load_b128 v[5:8], v9, s[4:5] offset:16
	global_load_b128 v[9:12], v9, s[4:5]
	v_lshlrev_b32_e32 v30, 5, v148
	s_clause 0x7
	global_load_b128 v[13:16], v17, s[4:5] offset:16
	global_load_b128 v[17:20], v17, s[4:5]
	global_load_b128 v[21:24], v25, s[4:5]
	global_load_b128 v[33:36], v25, s[4:5] offset:16
	global_load_b128 v[37:40], v26, s[4:5]
	global_load_b128 v[41:44], v26, s[4:5] offset:16
	;; [unrolled: 2-line block ×3, first 2 shown]
	ds_load_2addr_b64 v[92:95], v82 offset0:84 offset1:201
	ds_load_2addr_b64 v[96:99], v84 offset0:18 offset1:135
	;; [unrolled: 1-line block ×5, first 2 shown]
	ds_load_b64 v[25:26], v80 offset:13104
	v_mul_lo_u16 v27, 0xa5, v27
	v_mul_u32_u24_e32 v150, 0xa41b, v4
	v_mul_u32_u24_e32 v151, 0xa41b, v2
	;; [unrolled: 1-line block ×3, first 2 shown]
	v_and_b32_e32 v140, 0xffff, v140
	v_lshrrev_b16 v149, 8, v27
	v_and_b32_e32 v139, 0xffff, v139
	v_mul_lo_u16 v51, 0xa5, v51
	ds_load_2addr_b64 v[115:118], v80 offset1:117
	ds_load_2addr_b64 v[119:122], v83 offset0:106 offset1:223
	s_mov_b32 s2, 0xe8584caa
	v_sub_nc_u16 v153, v106, v149
	s_mov_b32 s3, 0xbfebb67a
	v_lshrrev_b16 v51, 8, v51
	s_mov_b32 s7, 0x3febb67a
	s_mov_b32 s6, s2
	s_waitcnt vmcnt(0) lgkmcnt(0)
	s_barrier
	buffer_gl0_inv
	v_mul_u32_u24_e32 v2, 0x8c09, v2
	v_mul_u32_u24_e32 v3, 0x8c09, v3
	;; [unrolled: 1-line block ×3, first 2 shown]
	s_delay_alu instid0(VALU_DEP_3) | instskip(NEXT) | instid1(VALU_DEP_3)
	v_lshrrev_b32_e32 v2, 22, v2
	v_lshrrev_b32_e32 v3, 22, v3
	s_delay_alu instid0(VALU_DEP_3) | instskip(NEXT) | instid1(VALU_DEP_1)
	v_lshrrev_b32_e32 v4, 22, v4
	v_mul_lo_u16 v4, 0x75, v4
	v_mul_f64 v[127:128], v[102:103], v[23:24]
	v_mul_f64 v[49:50], v[96:97], v[7:8]
	;; [unrolled: 1-line block ×20, first 2 shown]
	v_fma_f64 v[74:75], v[74:75], v[21:22], v[127:128]
	v_fma_f64 v[49:50], v[76:77], v[5:6], v[49:50]
	;; [unrolled: 1-line block ×3, first 2 shown]
	v_lshrrev_b32_e32 v76, 16, v150
	v_fma_f64 v[58:59], v[72:73], v[17:18], v[123:124]
	v_fma_f64 v[72:73], v[78:79], v[13:14], v[125:126]
	;; [unrolled: 1-line block ×7, first 2 shown]
	v_fma_f64 v[9:10], v[94:95], v[9:10], -v[11:12]
	v_fma_f64 v[5:6], v[96:97], v[5:6], -v[7:8]
	v_fma_f64 v[7:8], v[100:101], v[17:18], -v[19:20]
	v_fma_f64 v[11:12], v[98:99], v[13:14], -v[15:16]
	v_fma_f64 v[13:14], v[102:103], v[21:22], -v[23:24]
	v_fma_f64 v[15:16], v[107:108], v[33:34], -v[35:36]
	v_fma_f64 v[17:18], v[111:112], v[37:38], -v[39:40]
	v_fma_f64 v[19:20], v[109:110], v[41:42], -v[43:44]
	v_fma_f64 v[21:22], v[113:114], v[45:46], -v[47:48]
	v_fma_f64 v[23:24], v[25:26], v[88:89], -v[90:91]
	v_lshrrev_b32_e32 v77, 16, v151
	v_lshrrev_b32_e32 v78, 16, v152
	v_lshrrev_b16 v127, 1, v153
	v_sub_nc_u16 v128, v32, v76
	v_mul_u32_u24_e32 v123, 0x138, v140
	v_sub_nc_u16 v129, v0, v77
	v_sub_nc_u16 v130, v1, v78
	v_and_b32_e32 v37, 0x7f, v127
	v_lshrrev_b16 v41, 1, v128
	v_lshlrev_b32_e32 v45, 3, v145
	v_lshrrev_b16 v42, 1, v129
	v_lshrrev_b16 v43, 1, v130
	v_add_nc_u16 v46, v37, v149
	v_add_nc_u16 v41, v41, v76
	v_mul_u32_u24_e32 v79, 0x138, v139
	v_add_nc_u16 v42, v42, v77
	v_lshlrev_b32_e32 v44, 3, v144
	v_add_nc_u16 v43, v43, v78
	v_mul_u32_u24_e32 v124, 0x138, v141
	v_add_f64 v[25:26], v[30:31], v[49:50]
	v_add3_u32 v101, 0, v123, v45
	v_lshlrev_b32_e32 v45, 3, v146
	v_add_f64 v[33:34], v[58:59], v[72:73]
	v_add_f64 v[35:36], v[74:75], v[68:69]
	v_lshrrev_b16 v131, 5, v41
	v_add_f64 v[37:38], v[64:65], v[70:71]
	v_lshrrev_b16 v132, 5, v42
	v_add_f64 v[39:40], v[66:67], v[27:28]
	v_mul_u32_u24_e32 v125, 0x138, v142
	v_add_f64 v[41:42], v[9:10], v[5:6]
	v_lshlrev_b32_e32 v47, 3, v147
	v_add3_u32 v100, 0, v79, v44
	v_lshrrev_b16 v133, 5, v43
	v_add_f64 v[43:44], v[7:8], v[11:12]
	v_lshrrev_b16 v103, 5, v46
	v_add3_u32 v107, 0, v124, v45
	v_add_f64 v[45:46], v[13:14], v[15:16]
	v_add3_u32 v108, 0, v125, v47
	v_add_f64 v[47:48], v[17:18], v[19:20]
	v_sub_nc_u16 v29, v81, v51
	v_add_f64 v[78:79], v[21:22], v[23:24]
	v_add_f64 v[76:77], v[52:53], v[30:31]
	;; [unrolled: 1-line block ×4, first 2 shown]
	v_lshrrev_b16 v29, 1, v29
	v_add_f64 v[96:97], v[62:63], v[64:65]
	v_add_f64 v[88:89], v[9:10], -v[5:6]
	v_add_f64 v[9:10], v[115:116], v[9:10]
	v_add_f64 v[98:99], v[56:57], v[66:67]
	v_and_b32_e32 v29, 0x7f, v29
	v_add_f64 v[64:65], v[64:65], -v[70:71]
	v_add_f64 v[66:67], v[66:67], -v[27:28]
	v_and_b32_e32 v134, 7, v103
	v_mul_lo_u16 v109, v133, 39
	v_add_nc_u16 v29, v29, v51
	v_mul_lo_u16 v103, v132, 39
	v_mul_u32_u24_e32 v126, 0x138, v143
	v_fma_f64 v[25:26], v[25:26], -0.5, v[52:53]
	v_add_f64 v[51:52], v[7:8], -v[11:12]
	v_lshrrev_b16 v29, 5, v29
	v_fma_f64 v[33:34], v[33:34], -0.5, v[54:55]
	v_add_f64 v[53:54], v[13:14], -v[15:16]
	v_fma_f64 v[35:36], v[35:36], -0.5, v[60:61]
	v_add_f64 v[60:61], v[17:18], -v[19:20]
	;; [unrolled: 2-line block ×3, first 2 shown]
	v_fma_f64 v[39:40], v[39:40], -0.5, v[56:57]
	v_and_b32_e32 v135, 7, v29
	v_mul_lo_u16 v29, v131, 39
	v_fma_f64 v[41:42], v[41:42], -0.5, v[115:116]
	v_add_f64 v[7:8], v[117:118], v[7:8]
	v_add_f64 v[55:56], v[58:59], -v[72:73]
	v_fma_f64 v[43:44], v[43:44], -0.5, v[117:118]
	v_sub_nc_u16 v112, v32, v29
	v_add_f64 v[29:30], v[30:31], -v[49:50]
	v_add_f64 v[13:14], v[119:120], v[13:14]
	v_add_f64 v[57:58], v[74:75], -v[68:69]
	v_fma_f64 v[45:46], v[45:46], -0.5, v[119:120]
	v_add_f64 v[17:18], v[121:122], v[17:18]
	v_fma_f64 v[47:48], v[47:48], -0.5, v[121:122]
	v_add_f64 v[21:22], v[92:93], v[21:22]
	v_fma_f64 v[74:75], v[78:79], -0.5, v[92:93]
	v_mul_lo_u16 v110, v134, 39
	v_mul_lo_u16 v111, v135, 39
	v_add_f64 v[49:50], v[76:77], v[49:50]
	v_add_f64 v[70:71], v[96:97], v[70:71]
	;; [unrolled: 1-line block ×5, first 2 shown]
	v_sub_nc_u16 v31, v0, v103
	v_and_b32_e32 v136, 0xffff, v112
	v_lshlrev_b32_e32 v102, 3, v148
	s_delay_alu instid0(VALU_DEP_3)
	v_and_b32_e32 v137, 0xffff, v31
	v_fma_f64 v[76:77], v[88:89], s[2:3], v[25:26]
	v_fma_f64 v[25:26], v[88:89], s[6:7], v[25:26]
	v_lshlrev_b32_e32 v31, 5, v136
	v_fma_f64 v[78:79], v[51:52], s[2:3], v[33:34]
	v_fma_f64 v[33:34], v[51:52], s[6:7], v[33:34]
	v_fma_f64 v[51:52], v[53:54], s[2:3], v[35:36]
	v_fma_f64 v[35:36], v[53:54], s[6:7], v[35:36]
	v_fma_f64 v[53:54], v[60:61], s[2:3], v[37:38]
	v_fma_f64 v[37:38], v[60:61], s[6:7], v[37:38]
	v_fma_f64 v[59:60], v[62:63], s[2:3], v[39:40]
	v_fma_f64 v[39:40], v[62:63], s[6:7], v[39:40]
	v_sub_nc_u16 v61, v1, v109
	v_sub_nc_u16 v62, v106, v110
	v_add_f64 v[88:89], v[7:8], v[11:12]
	v_sub_nc_u16 v63, v81, v111
	v_add3_u32 v102, 0, v126, v102
	v_and_b32_e32 v138, 0xffff, v61
	v_and_b32_e32 v139, 0xff, v62
	v_add_f64 v[61:62], v[9:10], v[5:6]
	v_fma_f64 v[96:97], v[29:30], s[6:7], v[41:42]
	v_fma_f64 v[29:30], v[29:30], s[2:3], v[41:42]
	;; [unrolled: 1-line block ×4, first 2 shown]
	v_add_f64 v[90:91], v[13:14], v[15:16]
	v_fma_f64 v[55:56], v[57:58], s[6:7], v[45:46]
	v_fma_f64 v[45:46], v[57:58], s[2:3], v[45:46]
	v_add_f64 v[92:93], v[17:18], v[19:20]
	v_fma_f64 v[57:58], v[64:65], s[6:7], v[47:48]
	v_fma_f64 v[47:48], v[64:65], s[2:3], v[47:48]
	v_and_b32_e32 v140, 0xff, v63
	v_add_f64 v[94:95], v[21:22], v[23:24]
	v_fma_f64 v[63:64], v[66:67], s[6:7], v[74:75]
	v_fma_f64 v[65:66], v[66:67], s[2:3], v[74:75]
	v_lshlrev_b32_e32 v74, 5, v139
	v_lshlrev_b32_e32 v67, 5, v137
	;; [unrolled: 1-line block ×3, first 2 shown]
	ds_store_2addr_b64 v100, v[49:50], v[76:77] offset1:13
	ds_store_b64 v100, v[25:26] offset:208
	ds_store_2addr_b64 v101, v[72:73], v[78:79] offset1:13
	ds_store_b64 v101, v[33:34] offset:208
	;; [unrolled: 2-line block ×5, first 2 shown]
	s_waitcnt lgkmcnt(0)
	s_barrier
	buffer_gl0_inv
	ds_load_2addr_b64 v[5:8], v80 offset1:117
	ds_load_2addr_b64 v[9:12], v82 offset0:84 offset1:201
	ds_load_2addr_b64 v[13:16], v84 offset0:18 offset1:135
	;; [unrolled: 1-line block ×6, first 2 shown]
	ds_load_b64 v[77:78], v80 offset:13104
	s_waitcnt lgkmcnt(0)
	s_barrier
	buffer_gl0_inv
	ds_store_2addr_b64 v100, v[61:62], v[96:97] offset1:13
	ds_store_b64 v100, v[29:30] offset:208
	ds_store_2addr_b64 v101, v[88:89], v[41:42] offset1:13
	ds_store_b64 v101, v[43:44] offset:208
	;; [unrolled: 2-line block ×5, first 2 shown]
	v_lshlrev_b32_e32 v29, 5, v138
	s_waitcnt lgkmcnt(0)
	s_barrier
	buffer_gl0_inv
	s_clause 0x9
	global_load_b128 v[37:40], v74, s[4:5] offset:432
	global_load_b128 v[41:44], v74, s[4:5] offset:416
	;; [unrolled: 1-line block ×10, first 2 shown]
	ds_load_2addr_b64 v[88:91], v82 offset0:84 offset1:201
	ds_load_2addr_b64 v[92:95], v84 offset0:18 offset1:135
	;; [unrolled: 1-line block ×5, first 2 shown]
	ds_load_b64 v[29:30], v80 offset:13104
	s_waitcnt vmcnt(5) lgkmcnt(3)
	v_mul_f64 v[119:120], v[98:99], v[55:56]
	v_mul_f64 v[113:114], v[92:93], v[39:40]
	;; [unrolled: 1-line block ×5, first 2 shown]
	s_waitcnt vmcnt(1) lgkmcnt(1)
	v_mul_f64 v[127:128], v[109:110], v[71:72]
	s_waitcnt vmcnt(0) lgkmcnt(0)
	v_mul_f64 v[129:130], v[29:30], v[75:76]
	v_mul_f64 v[121:122], v[100:101], v[59:60]
	;; [unrolled: 1-line block ×14, first 2 shown]
	v_fma_f64 v[19:20], v[19:20], v[53:54], v[119:120]
	v_fma_f64 v[113:114], v[13:14], v[37:38], v[113:114]
	v_fma_f64 v[111:112], v[11:12], v[41:42], v[111:112]
	v_fma_f64 v[15:16], v[15:16], v[45:46], v[117:118]
	v_fma_f64 v[17:18], v[17:18], v[49:50], v[115:116]
	v_fma_f64 v[35:36], v[35:36], v[69:70], v[127:128]
	v_fma_f64 v[77:78], v[77:78], v[73:74], v[129:130]
	v_fma_f64 v[25:26], v[25:26], v[57:58], v[121:122]
	v_fma_f64 v[33:34], v[33:34], v[61:62], v[123:124]
	v_fma_f64 v[115:116], v[27:28], v[65:66], v[125:126]
	v_fma_f64 v[41:42], v[90:91], v[41:42], -v[43:44]
	v_fma_f64 v[37:38], v[92:93], v[37:38], -v[39:40]
	;; [unrolled: 1-line block ×10, first 2 shown]
	v_dual_mov_b32 v29, 0 :: v_dual_lshlrev_b32 v28, 1, v106
	v_mul_lo_u16 v11, 0x75, v2
	v_mul_lo_u16 v12, 0x75, v3
	v_sub_nc_u16 v4, v32, v4
	v_and_b32_e32 v102, 0xffff, v135
	v_lshlrev_b64 v[2:3], 4, v[28:29]
	v_sub_nc_u16 v0, v0, v11
	v_sub_nc_u16 v1, v1, v12
	ds_load_2addr_b64 v[11:14], v83 offset0:106 offset1:223
	v_and_b32_e32 v79, 0xffff, v4
	v_and_b32_e32 v101, 0xffff, v131
	v_add_co_u32 v65, s0, s4, v2
	s_delay_alu instid0(VALU_DEP_1)
	v_add_co_ci_u32_e64 v66, s0, s5, v3, s0
	v_and_b32_e32 v123, 0xffff, v0
	v_and_b32_e32 v124, 0xffff, v1
	ds_load_2addr_b64 v[0:3], v80 offset1:117
	v_add_f64 v[94:95], v[21:22], v[19:20]
	v_add_f64 v[55:56], v[111:112], v[113:114]
	;; [unrolled: 1-line block ×11, first 2 shown]
	v_add_f64 v[90:91], v[41:42], -v[37:38]
	v_add_f64 v[67:68], v[39:40], v[43:44]
	v_add_f64 v[17:18], v[17:18], -v[15:16]
	v_add_f64 v[69:70], v[45:46], v[47:48]
	;; [unrolled: 2-line block ×3, first 2 shown]
	v_mul_u32_u24_e32 v102, 0x3a8, v102
	v_add_f64 v[75:76], v[53:54], v[30:31]
	s_waitcnt lgkmcnt(0)
	v_add_f64 v[41:42], v[0:1], v[41:42]
	v_mul_u32_u24_e32 v101, 0x3a8, v101
	v_lshlrev_b32_e32 v100, 5, v79
	s_barrier
	buffer_gl0_inv
	v_add_f64 v[25:26], v[94:95], v[25:26]
	v_fma_f64 v[4:5], v[55:56], -0.5, v[5:6]
	v_add_f64 v[55:56], v[39:40], -v[43:44]
	v_fma_f64 v[6:7], v[57:58], -0.5, v[7:8]
	v_add_f64 v[57:58], v[45:46], -v[47:48]
	v_fma_f64 v[8:9], v[63:64], -0.5, v[9:10]
	v_and_b32_e32 v63, 0xffff, v133
	v_and_b32_e32 v64, 0xffff, v134
	;; [unrolled: 1-line block ×3, first 2 shown]
	v_fma_f64 v[21:22], v[59:60], -0.5, v[21:22]
	v_add_f64 v[59:60], v[49:50], -v[51:52]
	v_fma_f64 v[23:24], v[61:62], -0.5, v[23:24]
	v_add_f64 v[61:62], v[53:54], -v[30:31]
	v_mul_u32_u24_e32 v107, 0x3a8, v63
	v_mul_u32_u24_e32 v108, 0x3a8, v64
	v_add_f64 v[63:64], v[111:112], -v[113:114]
	v_add_f64 v[45:46], v[11:12], v[45:46]
	v_fma_f64 v[0:1], v[27:28], -0.5, v[0:1]
	v_add_f64 v[39:40], v[2:3], v[39:40]
	v_add_f64 v[49:50], v[13:14], v[49:50]
	v_fma_f64 v[2:3], v[67:68], -0.5, v[2:3]
	v_mul_u32_u24_e32 v103, 0x3a8, v10
	v_add_f64 v[53:54], v[88:89], v[53:54]
	v_fma_f64 v[10:11], v[69:70], -0.5, v[11:12]
	v_add_f64 v[27:28], v[33:34], -v[115:116]
	v_fma_f64 v[12:13], v[71:72], -0.5, v[13:14]
	v_add_f64 v[33:34], v[35:36], -v[77:78]
	v_fma_f64 v[35:36], v[75:76], -0.5, v[88:89]
	v_add_f64 v[67:68], v[73:74], v[113:114]
	v_add_f64 v[37:38], v[41:42], v[37:38]
	;; [unrolled: 1-line block ×4, first 2 shown]
	v_lshlrev_b32_e32 v77, 3, v139
	v_add_f64 v[69:70], v[96:97], v[115:116]
	v_lshlrev_b32_e32 v16, 3, v136
	s_delay_alu instid0(VALU_DEP_3)
	v_add3_u32 v94, 0, v108, v77
	v_fma_f64 v[73:74], v[90:91], s[2:3], v[4:5]
	v_fma_f64 v[4:5], v[90:91], s[6:7], v[4:5]
	v_fma_f64 v[75:76], v[55:56], s[2:3], v[6:7]
	v_fma_f64 v[6:7], v[55:56], s[6:7], v[6:7]
	v_lshlrev_b32_e32 v90, 3, v140
	v_add3_u32 v91, 0, v101, v16
	v_fma_f64 v[55:56], v[57:58], s[2:3], v[21:22]
	v_fma_f64 v[21:22], v[57:58], s[6:7], v[21:22]
	;; [unrolled: 1-line block ×6, first 2 shown]
	v_lshlrev_b32_e32 v61, 3, v137
	v_lshlrev_b32_e32 v62, 3, v138
	v_add_f64 v[41:42], v[45:46], v[47:48]
	v_fma_f64 v[45:46], v[63:64], s[6:7], v[0:1]
	v_fma_f64 v[47:48], v[63:64], s[2:3], v[0:1]
	v_add_f64 v[39:40], v[39:40], v[43:44]
	v_add_f64 v[43:44], v[49:50], v[51:52]
	v_fma_f64 v[49:50], v[17:18], s[6:7], v[2:3]
	v_fma_f64 v[51:52], v[17:18], s[2:3], v[2:3]
	v_add_f64 v[30:31], v[53:54], v[30:31]
	v_fma_f64 v[53:54], v[19:20], s[6:7], v[10:11]
	v_add3_u32 v92, 0, v103, v61
	v_add3_u32 v93, 0, v107, v62
	v_fma_f64 v[61:62], v[19:20], s[2:3], v[10:11]
	v_fma_f64 v[63:64], v[27:28], s[6:7], v[12:13]
	;; [unrolled: 1-line block ×5, first 2 shown]
	v_add3_u32 v28, 0, v102, v90
	ds_store_2addr_b64 v94, v[67:68], v[73:74] offset1:39
	ds_store_b64 v94, v[4:5] offset:624
	ds_store_2addr_b64 v28, v[14:15], v[75:76] offset1:39
	ds_store_b64 v28, v[6:7] offset:624
	;; [unrolled: 2-line block ×5, first 2 shown]
	s_waitcnt lgkmcnt(0)
	s_barrier
	buffer_gl0_inv
	ds_load_2addr_b64 v[0:3], v80 offset1:117
	ds_load_2addr_b64 v[4:7], v82 offset0:84 offset1:201
	ds_load_2addr_b64 v[8:11], v84 offset0:18 offset1:135
	;; [unrolled: 1-line block ×6, first 2 shown]
	ds_load_b64 v[96:97], v80 offset:13104
	s_waitcnt lgkmcnt(0)
	s_barrier
	buffer_gl0_inv
	ds_store_2addr_b64 v94, v[37:38], v[45:46] offset1:39
	ds_store_b64 v94, v[47:48] offset:624
	ds_store_2addr_b64 v28, v[39:40], v[49:50] offset1:39
	ds_store_b64 v28, v[51:52] offset:624
	;; [unrolled: 2-line block ×5, first 2 shown]
	s_waitcnt lgkmcnt(0)
	s_barrier
	buffer_gl0_inv
	s_clause 0x1
	global_load_b128 v[33:36], v[65:66], off offset:1680
	global_load_b128 v[37:40], v[65:66], off offset:1664
	v_lshlrev_b32_e32 v28, 5, v123
	v_lshlrev_b32_e32 v30, 5, v124
	s_clause 0x5
	global_load_b128 v[41:44], v100, s[4:5] offset:1664
	global_load_b128 v[45:48], v100, s[4:5] offset:1680
	global_load_b128 v[49:52], v28, s[4:5] offset:1664
	global_load_b128 v[53:56], v28, s[4:5] offset:1680
	global_load_b128 v[57:60], v30, s[4:5] offset:1664
	global_load_b128 v[61:64], v30, s[4:5] offset:1680
	ds_load_2addr_b64 v[65:68], v82 offset0:84 offset1:201
	ds_load_2addr_b64 v[69:72], v84 offset0:18 offset1:135
	;; [unrolled: 1-line block ×5, first 2 shown]
	ds_load_b64 v[30:31], v80 offset:13104
	v_lshl_add_u32 v28, v79, 3, 0
	v_lshl_add_u32 v79, v123, 3, 0
	s_waitcnt vmcnt(5) lgkmcnt(3)
	v_mul_f64 v[107:108], v[75:76], v[43:44]
	v_mul_f64 v[77:78], v[67:68], v[39:40]
	;; [unrolled: 1-line block ×5, first 2 shown]
	s_waitcnt vmcnt(4) lgkmcnt(2)
	v_mul_f64 v[109:110], v[88:89], v[47:48]
	s_waitcnt vmcnt(3) lgkmcnt(1)
	v_mul_f64 v[111:112], v[92:93], v[51:52]
	s_waitcnt vmcnt(2)
	v_mul_f64 v[113:114], v[90:91], v[55:56]
	s_waitcnt vmcnt(1)
	v_mul_f64 v[115:116], v[94:95], v[59:60]
	s_waitcnt vmcnt(0) lgkmcnt(0)
	v_mul_f64 v[117:118], v[30:31], v[63:64]
	v_mul_f64 v[119:120], v[6:7], v[39:40]
	;; [unrolled: 1-line block ×11, first 2 shown]
	v_fma_f64 v[14:15], v[14:15], v[41:42], v[107:108]
	v_fma_f64 v[77:78], v[6:7], v[37:38], v[77:78]
	;; [unrolled: 1-line block ×10, first 2 shown]
	v_fma_f64 v[67:68], v[67:68], v[37:38], -v[119:120]
	v_fma_f64 v[69:70], v[69:70], v[33:34], -v[121:122]
	v_fma_f64 v[37:38], v[73:74], v[37:38], -v[39:40]
	v_fma_f64 v[33:34], v[71:72], v[33:34], -v[35:36]
	v_fma_f64 v[35:36], v[75:76], v[41:42], -v[43:44]
	v_fma_f64 v[39:40], v[88:89], v[45:46], -v[47:48]
	v_fma_f64 v[41:42], v[92:93], v[49:50], -v[51:52]
	v_fma_f64 v[43:44], v[90:91], v[53:54], -v[55:56]
	v_fma_f64 v[45:46], v[94:95], v[57:58], -v[59:60]
	v_fma_f64 v[30:31], v[30:31], v[61:62], -v[63:64]
	ds_load_2addr_b64 v[6:9], v80 offset1:117
	ds_load_2addr_b64 v[10:13], v83 offset0:106 offset1:223
	s_waitcnt lgkmcnt(0)
	s_barrier
	buffer_gl0_inv
	v_add_f64 v[92:93], v[16:17], v[14:15]
	v_add_f64 v[57:58], v[0:1], v[77:78]
	;; [unrolled: 1-line block ×10, first 2 shown]
	v_add_f64 v[14:15], v[14:15], -v[20:21]
	v_add_f64 v[61:62], v[67:68], v[69:70]
	v_add_f64 v[59:60], v[67:68], -v[69:70]
	v_add_f64 v[71:72], v[37:38], v[33:34]
	;; [unrolled: 2-line block ×4, first 2 shown]
	v_add_f64 v[37:38], v[8:9], v[37:38]
	v_add_f64 v[90:91], v[45:46], v[30:31]
	;; [unrolled: 1-line block ×3, first 2 shown]
	v_add_f64 v[24:25], v[24:25], -v[22:23]
	v_add_f64 v[26:27], v[26:27], -v[96:97]
	v_add_f64 v[20:21], v[92:93], v[20:21]
	v_add_f64 v[57:58], v[57:58], v[98:99]
	v_fma_f64 v[0:1], v[47:48], -0.5, v[0:1]
	v_add_f64 v[47:48], v[41:42], -v[43:44]
	v_fma_f64 v[2:3], v[49:50], -0.5, v[2:3]
	v_fma_f64 v[16:17], v[51:52], -0.5, v[16:17]
	v_add_f64 v[49:50], v[45:46], -v[30:31]
	v_fma_f64 v[18:19], v[53:54], -0.5, v[18:19]
	v_add_f64 v[51:52], v[6:7], v[67:68]
	v_fma_f64 v[4:5], v[55:56], -0.5, v[4:5]
	v_add_f64 v[53:54], v[77:78], -v[98:99]
	v_add_f64 v[41:42], v[12:13], v[41:42]
	v_fma_f64 v[6:7], v[61:62], -0.5, v[6:7]
	v_add_f64 v[55:56], v[100:101], -v[102:103]
	v_add_f64 v[45:46], v[65:66], v[45:46]
	v_fma_f64 v[8:9], v[71:72], -0.5, v[8:9]
	v_fma_f64 v[10:11], v[75:76], -0.5, v[10:11]
	;; [unrolled: 1-line block ×3, first 2 shown]
	v_add_f64 v[63:64], v[63:64], v[102:103]
	v_fma_f64 v[61:62], v[90:91], -0.5, v[65:66]
	v_add_f64 v[22:23], v[107:108], v[22:23]
	v_add_f64 v[65:66], v[109:110], v[96:97]
	;; [unrolled: 1-line block ×4, first 2 shown]
	v_lshl_add_u32 v88, v124, 3, 0
	v_add_nc_u32_e32 v89, 0x1400, v28
	v_add_nc_u32_e32 v90, 0x2000, v79
	s_delay_alu instid0(VALU_DEP_3)
	v_add_nc_u32_e32 v91, 0x2800, v88
	v_fma_f64 v[67:68], v[59:60], s[2:3], v[0:1]
	v_fma_f64 v[0:1], v[59:60], s[6:7], v[0:1]
	;; [unrolled: 1-line block ×10, first 2 shown]
	v_add_f64 v[47:48], v[51:52], v[69:70]
	v_add_f64 v[37:38], v[41:42], v[43:44]
	v_fma_f64 v[41:42], v[53:54], s[6:7], v[6:7]
	v_fma_f64 v[43:44], v[53:54], s[2:3], v[6:7]
	v_add_f64 v[39:40], v[45:46], v[30:31]
	v_fma_f64 v[45:46], v[55:56], s[6:7], v[8:9]
	v_fma_f64 v[49:50], v[55:56], s[2:3], v[8:9]
	v_fma_f64 v[51:52], v[14:15], s[6:7], v[10:11]
	v_fma_f64 v[53:54], v[24:25], s[6:7], v[12:13]
	v_fma_f64 v[55:56], v[26:27], s[6:7], v[61:62]
	v_fma_f64 v[69:70], v[14:15], s[2:3], v[10:11]
	v_fma_f64 v[77:78], v[24:25], s[2:3], v[12:13]
	v_fma_f64 v[61:62], v[26:27], s[2:3], v[61:62]
	ds_store_2addr_b64 v80, v[57:58], v[67:68] offset1:117
	ds_store_2addr_b64 v83, v[0:1], v[63:64] offset0:106 offset1:223
	ds_store_2addr_b64 v82, v[59:60], v[2:3] offset0:84 offset1:201
	;; [unrolled: 1-line block ×5, first 2 shown]
	ds_store_b64 v28, v[16:17] offset:7488
	ds_store_b64 v79, v[18:19] offset:10296
	;; [unrolled: 1-line block ×3, first 2 shown]
	s_waitcnt lgkmcnt(0)
	s_barrier
	buffer_gl0_inv
	ds_load_2addr_b64 v[4:7], v80 offset1:117
	ds_load_2addr_b64 v[0:3], v83 offset0:106 offset1:223
	ds_load_2addr_b64 v[12:15], v85 offset0:62 offset1:179
	;; [unrolled: 1-line block ×6, first 2 shown]
	ds_load_b64 v[30:31], v80 offset:13104
	s_waitcnt lgkmcnt(0)
	s_barrier
	buffer_gl0_inv
	ds_store_2addr_b64 v80, v[47:48], v[41:42] offset1:117
	ds_store_2addr_b64 v83, v[43:44], v[33:34] offset0:106 offset1:223
	ds_store_2addr_b64 v82, v[45:46], v[49:50] offset0:84 offset1:201
	;; [unrolled: 1-line block ×5, first 2 shown]
	ds_store_b64 v28, v[69:70] offset:7488
	ds_store_b64 v79, v[77:78] offset:10296
	;; [unrolled: 1-line block ×3, first 2 shown]
	s_waitcnt lgkmcnt(0)
	s_barrier
	buffer_gl0_inv
	s_and_saveexec_b32 s0, vcc_lo
	s_cbranch_execz .LBB0_19
; %bb.18:
	v_dual_mov_b32 v107, v29 :: v_dual_lshlrev_b32 v28, 2, v32
	s_mov_b32 s11, 0xbfee6f0e
	s_mov_b32 s2, 0x4755a5e
	;; [unrolled: 1-line block ×3, first 2 shown]
	s_delay_alu instid0(VALU_DEP_1)
	v_lshlrev_b64 v[33:34], 4, v[28:29]
	v_lshlrev_b32_e32 v28, 2, v81
	s_mov_b32 s7, 0x3fe2cf23
	s_mov_b32 s6, s2
	;; [unrolled: 1-line block ×4, first 2 shown]
	v_add_co_u32 v35, vcc_lo, s4, v33
	v_add_co_ci_u32_e32 v36, vcc_lo, s5, v34, vcc_lo
	v_lshlrev_b64 v[33:34], 4, v[28:29]
	s_delay_alu instid0(VALU_DEP_3) | instskip(NEXT) | instid1(VALU_DEP_3)
	v_add_co_u32 v45, vcc_lo, 0x1520, v35
	v_add_co_ci_u32_e32 v46, vcc_lo, 0, v36, vcc_lo
	v_add_co_u32 v35, vcc_lo, 0x1000, v35
	v_add_co_ci_u32_e32 v36, vcc_lo, 0, v36, vcc_lo
	v_add_co_u32 v41, vcc_lo, s4, v33
	v_lshlrev_b32_e32 v28, 2, v106
	v_add_co_ci_u32_e32 v42, vcc_lo, s5, v34, vcc_lo
	s_delay_alu instid0(VALU_DEP_3) | instskip(NEXT) | instid1(VALU_DEP_3)
	v_add_co_u32 v49, vcc_lo, 0x1000, v41
	v_lshlrev_b64 v[57:58], 4, v[28:29]
	s_delay_alu instid0(VALU_DEP_3) | instskip(SKIP_2) | instid1(VALU_DEP_4)
	v_add_co_ci_u32_e32 v50, vcc_lo, 0, v42, vcc_lo
	v_add_co_u32 v61, vcc_lo, 0x1520, v41
	v_add_co_ci_u32_e32 v62, vcc_lo, 0, v42, vcc_lo
	v_add_co_u32 v28, vcc_lo, s4, v57
	v_add_co_ci_u32_e32 v65, vcc_lo, s5, v58, vcc_lo
	s_clause 0x1
	global_load_b128 v[33:36], v[35:36], off offset:1312
	global_load_b128 v[37:40], v[45:46], off offset:48
	v_add_co_u32 v77, vcc_lo, 0x1520, v28
	v_add_co_ci_u32_e32 v78, vcc_lo, 0, v65, vcc_lo
	v_add_co_u32 v69, vcc_lo, 0x1000, v28
	v_add_co_ci_u32_e32 v70, vcc_lo, 0, v65, vcc_lo
	s_clause 0x9
	global_load_b128 v[41:44], v[45:46], off offset:32
	global_load_b128 v[45:48], v[45:46], off offset:16
	;; [unrolled: 1-line block ×10, first 2 shown]
	v_add_nc_u32_e32 v28, 0x1c00, v80
	v_add_nc_u32_e32 v77, 0x2400, v80
	;; [unrolled: 1-line block ×3, first 2 shown]
	ds_load_b64 v[101:102], v80 offset:13104
	ds_load_2addr_b64 v[85:88], v28 offset0:40 offset1:157
	ds_load_2addr_b64 v[89:92], v77 offset0:18 offset1:135
	;; [unrolled: 1-line block ×3, first 2 shown]
	v_add_nc_u32_e32 v28, 0x1400, v80
	v_add_nc_u32_e32 v77, 0x2800, v80
	s_mov_b32 s4, 0x134454ff
	s_mov_b32 s5, 0x3fee6f0e
	;; [unrolled: 1-line block ×3, first 2 shown]
	ds_load_2addr_b64 v[97:100], v28 offset0:62 offset1:179
	v_add_nc_u32_e32 v28, 0x400, v80
	ds_load_2addr_b64 v[108:111], v77 offset0:124 offset1:241
	ds_load_2addr_b64 v[112:115], v28 offset0:106 offset1:223
	v_mul_hi_u32 v28, 0x756cac21, v32
	s_delay_alu instid0(VALU_DEP_1) | instskip(NEXT) | instid1(VALU_DEP_1)
	v_sub_nc_u32_e32 v32, v32, v28
	v_lshrrev_b32_e32 v32, 1, v32
	s_delay_alu instid0(VALU_DEP_1) | instskip(NEXT) | instid1(VALU_DEP_1)
	v_add_nc_u32_e32 v28, v32, v28
	v_lshrrev_b32_e32 v28, 8, v28
	s_delay_alu instid0(VALU_DEP_1)
	v_mul_u32_u24_e32 v28, 0x57c, v28
	s_waitcnt vmcnt(11)
	v_mul_f64 v[118:119], v[22:23], v[35:36]
	s_waitcnt vmcnt(10)
	v_mul_f64 v[122:123], v[30:31], v[39:40]
	s_waitcnt lgkmcnt(3)
	v_mul_f64 v[35:36], v[95:96], v[35:36]
	v_mul_f64 v[39:40], v[101:102], v[39:40]
	s_waitcnt vmcnt(9)
	v_mul_f64 v[120:121], v[26:27], v[43:44]
	s_waitcnt vmcnt(8)
	;; [unrolled: 2-line block ×4, first 2 shown]
	v_mul_f64 v[130:131], v[10:11], v[55:56]
	v_mul_f64 v[51:52], v[93:94], v[51:52]
	s_waitcnt lgkmcnt(1)
	v_mul_f64 v[55:56], v[110:111], v[55:56]
	s_waitcnt vmcnt(4)
	v_mul_f64 v[124:125], v[14:15], v[63:64]
	v_mul_f64 v[128:129], v[24:25], v[59:60]
	;; [unrolled: 1-line block ×6, first 2 shown]
	s_waitcnt vmcnt(3)
	v_mul_f64 v[132:133], v[12:13], v[67:68]
	s_waitcnt vmcnt(2)
	v_mul_f64 v[134:135], v[2:3], v[71:72]
	;; [unrolled: 2-line block ×4, first 2 shown]
	s_waitcnt lgkmcnt(0)
	v_mul_f64 v[71:72], v[114:115], v[71:72]
	v_mul_f64 v[83:84], v[108:109], v[83:84]
	;; [unrolled: 1-line block ×4, first 2 shown]
	ds_load_2addr_b64 v[75:78], v80 offset1:117
	v_lshlrev_b64 v[79:80], 4, v[106:107]
	v_fma_f64 v[95:96], v[95:96], v[33:34], -v[118:119]
	v_fma_f64 v[101:102], v[101:102], v[37:38], -v[122:123]
	v_fma_f64 v[22:23], v[22:23], v[33:34], v[35:36]
	v_fma_f64 v[30:31], v[30:31], v[37:38], v[39:40]
	v_fma_f64 v[91:92], v[91:92], v[41:42], -v[120:121]
	v_fma_f64 v[85:86], v[85:86], v[45:46], -v[116:117]
	;; [unrolled: 1-line block ×4, first 2 shown]
	v_fma_f64 v[20:21], v[20:21], v[49:50], v[51:52]
	v_fma_f64 v[10:11], v[10:11], v[53:54], v[55:56]
	v_fma_f64 v[33:34], v[99:100], v[61:62], -v[124:125]
	v_fma_f64 v[37:38], v[89:90], v[57:58], -v[128:129]
	v_fma_f64 v[14:15], v[14:15], v[61:62], v[63:64]
	v_fma_f64 v[24:25], v[24:25], v[57:58], v[59:60]
	;; [unrolled: 1-line block ×4, first 2 shown]
	v_fma_f64 v[41:42], v[97:98], v[65:66], -v[132:133]
	v_fma_f64 v[43:44], v[114:115], v[69:70], -v[134:135]
	;; [unrolled: 1-line block ×4, first 2 shown]
	v_fma_f64 v[2:3], v[2:3], v[69:70], v[71:72]
	v_fma_f64 v[8:9], v[8:9], v[81:82], v[83:84]
	;; [unrolled: 1-line block ×4, first 2 shown]
	v_add_co_u32 v49, vcc_lo, s8, v104
	v_add_co_ci_u32_e32 v50, vcc_lo, s9, v105, vcc_lo
	s_delay_alu instid0(VALU_DEP_2) | instskip(NEXT) | instid1(VALU_DEP_2)
	v_add_co_u32 v60, vcc_lo, v49, v79
	v_add_co_ci_u32_e32 v61, vcc_lo, v50, v80, vcc_lo
	s_delay_alu instid0(VALU_DEP_2)
	v_add_co_u32 v62, vcc_lo, 0x1000, v60
	v_add_f64 v[49:50], v[95:96], v[101:102]
	v_add_f64 v[93:94], v[95:96], v[112:113]
	;; [unrolled: 1-line block ×3, first 2 shown]
	v_add_f64 v[70:71], v[22:23], -v[30:31]
	v_add_co_ci_u32_e32 v63, vcc_lo, 0, v61, vcc_lo
	v_add_f64 v[55:56], v[91:92], -v[101:102]
	v_add_f64 v[53:54], v[85:86], v[91:92]
	s_waitcnt lgkmcnt(0)
	v_add_f64 v[132:133], v[35:36], v[77:78]
	v_add_f64 v[68:69], v[35:36], v[39:40]
	;; [unrolled: 1-line block ×4, first 2 shown]
	v_add_f64 v[51:52], v[85:86], -v[95:96]
	v_add_f64 v[72:73], v[33:34], v[37:38]
	v_add_f64 v[79:80], v[95:96], -v[85:86]
	v_add_f64 v[83:84], v[14:15], v[24:25]
	;; [unrolled: 2-line block ×4, first 2 shown]
	v_add_f64 v[97:98], v[41:42], v[45:46]
	v_add_f64 v[89:90], v[43:44], v[47:48]
	;; [unrolled: 1-line block ×6, first 2 shown]
	v_add_f64 v[87:88], v[101:102], -v[91:92]
	v_add_f64 v[107:108], v[26:27], -v[30:31]
	;; [unrolled: 1-line block ×12, first 2 shown]
	v_fma_f64 v[49:50], v[49:50], -0.5, v[112:113]
	v_add_f64 v[134:135], v[14:15], -v[20:21]
	v_fma_f64 v[57:58], v[57:58], -0.5, v[0:1]
	v_add_f64 v[20:21], v[20:21], -v[14:15]
	v_add_f64 v[150:151], v[12:13], -v[2:3]
	;; [unrolled: 1-line block ×4, first 2 shown]
	v_fma_f64 v[53:54], v[53:54], -0.5, v[112:113]
	v_add_f64 v[111:112], v[33:34], -v[37:38]
	v_fma_f64 v[68:69], v[68:69], -0.5, v[77:78]
	v_add_f64 v[14:15], v[14:15], v[138:139]
	v_fma_f64 v[81:82], v[81:82], -0.5, v[6:7]
	v_add_f64 v[136:137], v[24:25], -v[10:11]
	v_fma_f64 v[72:73], v[72:73], -0.5, v[77:78]
	v_add_f64 v[77:78], v[12:13], -v[18:19]
	;; [unrolled: 2-line block ×4, first 2 shown]
	v_add_f64 v[16:17], v[16:17], v[22:23]
	v_add_f64 v[22:23], v[33:34], v[132:133]
	v_fma_f64 v[89:90], v[89:90], -0.5, v[75:76]
	v_fma_f64 v[74:75], v[97:98], -0.5, v[75:76]
	;; [unrolled: 1-line block ×3, first 2 shown]
	v_add_f64 v[99:100], v[43:44], -v[47:48]
	v_fma_f64 v[4:5], v[105:106], -0.5, v[4:5]
	v_add_f64 v[32:33], v[41:42], v[140:141]
	v_add_f64 v[12:13], v[12:13], v[142:143]
	v_add_f64 v[105:106], v[41:42], -v[43:44]
	v_add_f64 v[43:44], v[43:44], -v[41:42]
	;; [unrolled: 1-line block ×3, first 2 shown]
	v_add_f64 v[51:52], v[51:52], v[55:56]
	v_add_f64 v[55:56], v[79:80], v[87:88]
	;; [unrolled: 1-line block ×5, first 2 shown]
	v_add_f64 v[144:145], v[10:11], -v[24:25]
	v_add_f64 v[148:149], v[45:46], -v[47:48]
	v_fma_f64 v[41:42], v[66:67], s[4:5], v[49:50]
	v_fma_f64 v[49:50], v[66:67], s[10:11], v[49:50]
	;; [unrolled: 1-line block ×4, first 2 shown]
	v_add_f64 v[152:153], v[18:19], -v[8:9]
	v_add_f64 v[154:155], v[8:9], -v[18:19]
	v_add_f64 v[119:120], v[120:121], v[122:123]
	v_fma_f64 v[93:94], v[70:71], s[10:11], v[53:54]
	v_fma_f64 v[53:54], v[70:71], s[4:5], v[53:54]
	;; [unrolled: 1-line block ×12, first 2 shown]
	v_add_f64 v[14:15], v[14:15], v[24:25]
	v_add_f64 v[22:23], v[37:38], v[22:23]
	v_fma_f64 v[138:139], v[77:78], s[4:5], v[89:90]
	v_fma_f64 v[89:90], v[77:78], s[10:11], v[89:90]
	v_fma_f64 v[142:143], v[146:147], s[4:5], v[97:98]
	v_fma_f64 v[97:98], v[146:147], s[10:11], v[97:98]
	v_fma_f64 v[140:141], v[83:84], s[4:5], v[74:75]
	v_fma_f64 v[156:157], v[99:100], s[10:11], v[4:5]
	v_fma_f64 v[74:75], v[83:84], s[10:11], v[74:75]
	v_fma_f64 v[4:5], v[99:100], s[4:5], v[4:5]
	v_add_f64 v[24:25], v[45:46], v[32:33]
	v_add_f64 v[12:13], v[12:13], v[18:19]
	;; [unrolled: 1-line block ×6, first 2 shown]
	v_add_co_u32 v64, vcc_lo, 0x2000, v60
	v_add_f64 v[20:21], v[20:21], v[144:145]
	v_fma_f64 v[18:19], v[70:71], s[2:3], v[41:42]
	v_fma_f64 v[26:27], v[70:71], s[6:7], v[49:50]
	v_add_f64 v[105:106], v[105:106], v[148:149]
	v_fma_f64 v[70:71], v[95:96], s[2:3], v[57:58]
	v_add_f64 v[130:131], v[150:151], v[152:153]
	v_add_f64 v[134:135], v[2:3], v[154:155]
	;; [unrolled: 1-line block ×3, first 2 shown]
	v_fma_f64 v[32:33], v[66:67], s[2:3], v[93:94]
	v_fma_f64 v[37:38], v[66:67], s[6:7], v[53:54]
	;; [unrolled: 1-line block ×12, first 2 shown]
	v_lshlrev_b64 v[107:108], 4, v[28:29]
	v_add_f64 v[6:7], v[39:40], v[22:23]
	v_fma_f64 v[72:73], v[83:84], s[2:3], v[138:139]
	v_fma_f64 v[79:80], v[83:84], s[6:7], v[89:90]
	;; [unrolled: 1-line block ×9, first 2 shown]
	v_add_f64 v[4:5], v[14:15], v[10:11]
	v_add_f64 v[10:11], v[47:48], v[24:25]
	;; [unrolled: 1-line block ×3, first 2 shown]
	v_add_co_ci_u32_e32 v65, vcc_lo, 0, v61, vcc_lo
	v_add_f64 v[0:1], v[16:17], v[30:31]
	v_add_co_u32 v99, vcc_lo, 0x4000, v60
	v_fma_f64 v[14:15], v[51:52], s[0:1], v[18:19]
	v_fma_f64 v[18:19], v[51:52], s[0:1], v[26:27]
	v_add_co_ci_u32_e32 v100, vcc_lo, 0, v61, vcc_lo
	v_fma_f64 v[16:17], v[85:86], s[0:1], v[70:71]
	v_add_co_u32 v103, vcc_lo, 0x5000, v60
	v_fma_f64 v[22:23], v[55:56], s[0:1], v[32:33]
	v_fma_f64 v[26:27], v[55:56], s[0:1], v[37:38]
	;; [unrolled: 1-line block ×10, first 2 shown]
	v_add_f64 v[2:3], v[101:102], v[2:3]
	v_fma_f64 v[12:13], v[85:86], s[0:1], v[66:67]
	v_fma_f64 v[20:21], v[87:88], s[0:1], v[95:96]
	v_add_co_ci_u32_e32 v104, vcc_lo, 0, v61, vcc_lo
	v_fma_f64 v[50:51], v[105:106], s[0:1], v[79:80]
	v_fma_f64 v[48:49], v[130:131], s[0:1], v[89:90]
	;; [unrolled: 1-line block ×9, first 2 shown]
	v_add_co_u32 v66, vcc_lo, v60, v107
	v_add_co_ci_u32_e32 v67, vcc_lo, v61, v108, vcc_lo
	v_add_co_u32 v68, vcc_lo, 0x3000, v60
	v_add_co_ci_u32_e32 v69, vcc_lo, 0, v61, vcc_lo
	s_delay_alu instid0(VALU_DEP_4) | instskip(NEXT) | instid1(VALU_DEP_4)
	v_add_co_u32 v70, vcc_lo, 0x2000, v66
	v_add_co_ci_u32_e32 v71, vcc_lo, 0, v67, vcc_lo
	v_add_co_u32 v72, vcc_lo, 0x3000, v66
	v_add_co_ci_u32_e32 v73, vcc_lo, 0, v67, vcc_lo
	;; [unrolled: 2-line block ×4, first 2 shown]
	s_clause 0xe
	global_store_b128 v[60:61], v[8:11], off
	global_store_b128 v[60:61], v[4:7], off offset:1872
	global_store_b128 v[68:69], v[32:35], off offset:816
	;; [unrolled: 1-line block ×14, first 2 shown]
.LBB0_19:
	s_nop 0
	s_sendmsg sendmsg(MSG_DEALLOC_VGPRS)
	s_endpgm
	.section	.rodata,"a",@progbits
	.p2align	6, 0x0
	.amdhsa_kernel fft_rtc_back_len1755_factors_13_3_3_3_5_wgs_117_tpt_117_halfLds_dp_ip_CI_unitstride_sbrr_dirReg
		.amdhsa_group_segment_fixed_size 0
		.amdhsa_private_segment_fixed_size 0
		.amdhsa_kernarg_size 88
		.amdhsa_user_sgpr_count 15
		.amdhsa_user_sgpr_dispatch_ptr 0
		.amdhsa_user_sgpr_queue_ptr 0
		.amdhsa_user_sgpr_kernarg_segment_ptr 1
		.amdhsa_user_sgpr_dispatch_id 0
		.amdhsa_user_sgpr_private_segment_size 0
		.amdhsa_wavefront_size32 1
		.amdhsa_uses_dynamic_stack 0
		.amdhsa_enable_private_segment 0
		.amdhsa_system_sgpr_workgroup_id_x 1
		.amdhsa_system_sgpr_workgroup_id_y 0
		.amdhsa_system_sgpr_workgroup_id_z 0
		.amdhsa_system_sgpr_workgroup_info 0
		.amdhsa_system_vgpr_workitem_id 0
		.amdhsa_next_free_vgpr 197
		.amdhsa_next_free_sgpr 44
		.amdhsa_reserve_vcc 1
		.amdhsa_float_round_mode_32 0
		.amdhsa_float_round_mode_16_64 0
		.amdhsa_float_denorm_mode_32 3
		.amdhsa_float_denorm_mode_16_64 3
		.amdhsa_dx10_clamp 1
		.amdhsa_ieee_mode 1
		.amdhsa_fp16_overflow 0
		.amdhsa_workgroup_processor_mode 1
		.amdhsa_memory_ordered 1
		.amdhsa_forward_progress 0
		.amdhsa_shared_vgpr_count 0
		.amdhsa_exception_fp_ieee_invalid_op 0
		.amdhsa_exception_fp_denorm_src 0
		.amdhsa_exception_fp_ieee_div_zero 0
		.amdhsa_exception_fp_ieee_overflow 0
		.amdhsa_exception_fp_ieee_underflow 0
		.amdhsa_exception_fp_ieee_inexact 0
		.amdhsa_exception_int_div_zero 0
	.end_amdhsa_kernel
	.text
.Lfunc_end0:
	.size	fft_rtc_back_len1755_factors_13_3_3_3_5_wgs_117_tpt_117_halfLds_dp_ip_CI_unitstride_sbrr_dirReg, .Lfunc_end0-fft_rtc_back_len1755_factors_13_3_3_3_5_wgs_117_tpt_117_halfLds_dp_ip_CI_unitstride_sbrr_dirReg
                                        ; -- End function
	.section	.AMDGPU.csdata,"",@progbits
; Kernel info:
; codeLenInByte = 17148
; NumSgprs: 46
; NumVgprs: 197
; ScratchSize: 0
; MemoryBound: 1
; FloatMode: 240
; IeeeMode: 1
; LDSByteSize: 0 bytes/workgroup (compile time only)
; SGPRBlocks: 5
; VGPRBlocks: 24
; NumSGPRsForWavesPerEU: 46
; NumVGPRsForWavesPerEU: 197
; Occupancy: 7
; WaveLimiterHint : 1
; COMPUTE_PGM_RSRC2:SCRATCH_EN: 0
; COMPUTE_PGM_RSRC2:USER_SGPR: 15
; COMPUTE_PGM_RSRC2:TRAP_HANDLER: 0
; COMPUTE_PGM_RSRC2:TGID_X_EN: 1
; COMPUTE_PGM_RSRC2:TGID_Y_EN: 0
; COMPUTE_PGM_RSRC2:TGID_Z_EN: 0
; COMPUTE_PGM_RSRC2:TIDIG_COMP_CNT: 0
	.text
	.p2alignl 7, 3214868480
	.fill 96, 4, 3214868480
	.type	__hip_cuid_edd7707eb2cf5427,@object ; @__hip_cuid_edd7707eb2cf5427
	.section	.bss,"aw",@nobits
	.globl	__hip_cuid_edd7707eb2cf5427
__hip_cuid_edd7707eb2cf5427:
	.byte	0                               ; 0x0
	.size	__hip_cuid_edd7707eb2cf5427, 1

	.ident	"AMD clang version 19.0.0git (https://github.com/RadeonOpenCompute/llvm-project roc-6.4.0 25133 c7fe45cf4b819c5991fe208aaa96edf142730f1d)"
	.section	".note.GNU-stack","",@progbits
	.addrsig
	.addrsig_sym __hip_cuid_edd7707eb2cf5427
	.amdgpu_metadata
---
amdhsa.kernels:
  - .args:
      - .actual_access:  read_only
        .address_space:  global
        .offset:         0
        .size:           8
        .value_kind:     global_buffer
      - .offset:         8
        .size:           8
        .value_kind:     by_value
      - .actual_access:  read_only
        .address_space:  global
        .offset:         16
        .size:           8
        .value_kind:     global_buffer
      - .actual_access:  read_only
        .address_space:  global
        .offset:         24
        .size:           8
        .value_kind:     global_buffer
      - .offset:         32
        .size:           8
        .value_kind:     by_value
      - .actual_access:  read_only
        .address_space:  global
        .offset:         40
        .size:           8
        .value_kind:     global_buffer
      - .actual_access:  read_only
        .address_space:  global
        .offset:         48
        .size:           8
        .value_kind:     global_buffer
      - .offset:         56
        .size:           4
        .value_kind:     by_value
      - .actual_access:  read_only
        .address_space:  global
        .offset:         64
        .size:           8
        .value_kind:     global_buffer
      - .actual_access:  read_only
        .address_space:  global
        .offset:         72
        .size:           8
        .value_kind:     global_buffer
      - .address_space:  global
        .offset:         80
        .size:           8
        .value_kind:     global_buffer
    .group_segment_fixed_size: 0
    .kernarg_segment_align: 8
    .kernarg_segment_size: 88
    .language:       OpenCL C
    .language_version:
      - 2
      - 0
    .max_flat_workgroup_size: 117
    .name:           fft_rtc_back_len1755_factors_13_3_3_3_5_wgs_117_tpt_117_halfLds_dp_ip_CI_unitstride_sbrr_dirReg
    .private_segment_fixed_size: 0
    .sgpr_count:     46
    .sgpr_spill_count: 0
    .symbol:         fft_rtc_back_len1755_factors_13_3_3_3_5_wgs_117_tpt_117_halfLds_dp_ip_CI_unitstride_sbrr_dirReg.kd
    .uniform_work_group_size: 1
    .uses_dynamic_stack: false
    .vgpr_count:     197
    .vgpr_spill_count: 0
    .wavefront_size: 32
    .workgroup_processor_mode: 1
amdhsa.target:   amdgcn-amd-amdhsa--gfx1100
amdhsa.version:
  - 1
  - 2
...

	.end_amdgpu_metadata
